;; amdgpu-corpus repo=ROCm/rocFFT kind=compiled arch=gfx1201 opt=O3
	.text
	.amdgcn_target "amdgcn-amd-amdhsa--gfx1201"
	.amdhsa_code_object_version 6
	.protected	fft_rtc_fwd_len153_factors_17_9_wgs_119_tpt_17_halfLds_sp_ip_CI_sbrr_dirReg ; -- Begin function fft_rtc_fwd_len153_factors_17_9_wgs_119_tpt_17_halfLds_sp_ip_CI_sbrr_dirReg
	.globl	fft_rtc_fwd_len153_factors_17_9_wgs_119_tpt_17_halfLds_sp_ip_CI_sbrr_dirReg
	.p2align	8
	.type	fft_rtc_fwd_len153_factors_17_9_wgs_119_tpt_17_halfLds_sp_ip_CI_sbrr_dirReg,@function
fft_rtc_fwd_len153_factors_17_9_wgs_119_tpt_17_halfLds_sp_ip_CI_sbrr_dirReg: ; @fft_rtc_fwd_len153_factors_17_9_wgs_119_tpt_17_halfLds_sp_ip_CI_sbrr_dirReg
; %bb.0:
	s_clause 0x1
	s_load_b64 s[12:13], s[0:1], 0x18
	s_load_b128 s[4:7], s[0:1], 0x0
	v_mul_u32_u24_e32 v1, 0xf10, v0
	v_mov_b32_e32 v3, 0
	s_load_b64 s[10:11], s[0:1], 0x50
	s_wait_kmcnt 0x0
	s_load_b64 s[8:9], s[12:13], 0x0
	v_lshrrev_b32_e32 v1, 16, v1
	v_cmp_lt_u64_e64 s2, s[6:7], 2
	s_delay_alu instid0(VALU_DEP_2) | instskip(SKIP_4) | instid1(VALU_DEP_1)
	v_mad_co_u64_u32 v[31:32], null, ttmp9, 7, v[1:2]
	v_mov_b32_e32 v1, 0
	v_mov_b32_e32 v2, 0
	;; [unrolled: 1-line block ×3, first 2 shown]
	s_and_b32 vcc_lo, exec_lo, s2
	v_dual_mov_b32 v7, v31 :: v_dual_mov_b32 v8, v32
	s_cbranch_vccnz .LBB0_8
; %bb.1:
	s_load_b64 s[2:3], s[0:1], 0x10
	v_mov_b32_e32 v1, 0
	v_dual_mov_b32 v2, 0 :: v_dual_mov_b32 v5, v31
	v_mov_b32_e32 v6, v32
	s_add_nc_u64 s[14:15], s[12:13], 8
	s_mov_b64 s[16:17], 1
	s_wait_kmcnt 0x0
	s_add_nc_u64 s[18:19], s[2:3], 8
	s_mov_b32 s3, 0
.LBB0_2:                                ; =>This Inner Loop Header: Depth=1
	s_load_b64 s[20:21], s[18:19], 0x0
                                        ; implicit-def: $vgpr7_vgpr8
	s_mov_b32 s2, exec_lo
	s_wait_kmcnt 0x0
	v_or_b32_e32 v4, s21, v6
	s_delay_alu instid0(VALU_DEP_1)
	v_cmpx_ne_u64_e32 0, v[3:4]
	s_wait_alu 0xfffe
	s_xor_b32 s22, exec_lo, s2
	s_cbranch_execz .LBB0_4
; %bb.3:                                ;   in Loop: Header=BB0_2 Depth=1
	s_cvt_f32_u32 s2, s20
	s_cvt_f32_u32 s23, s21
	s_sub_nc_u64 s[26:27], 0, s[20:21]
	s_wait_alu 0xfffe
	s_delay_alu instid0(SALU_CYCLE_1) | instskip(SKIP_1) | instid1(SALU_CYCLE_2)
	s_fmamk_f32 s2, s23, 0x4f800000, s2
	s_wait_alu 0xfffe
	v_s_rcp_f32 s2, s2
	s_delay_alu instid0(TRANS32_DEP_1) | instskip(SKIP_1) | instid1(SALU_CYCLE_2)
	s_mul_f32 s2, s2, 0x5f7ffffc
	s_wait_alu 0xfffe
	s_mul_f32 s23, s2, 0x2f800000
	s_wait_alu 0xfffe
	s_delay_alu instid0(SALU_CYCLE_2) | instskip(SKIP_1) | instid1(SALU_CYCLE_2)
	s_trunc_f32 s23, s23
	s_wait_alu 0xfffe
	s_fmamk_f32 s2, s23, 0xcf800000, s2
	s_cvt_u32_f32 s25, s23
	s_wait_alu 0xfffe
	s_delay_alu instid0(SALU_CYCLE_1) | instskip(SKIP_1) | instid1(SALU_CYCLE_2)
	s_cvt_u32_f32 s24, s2
	s_wait_alu 0xfffe
	s_mul_u64 s[28:29], s[26:27], s[24:25]
	s_wait_alu 0xfffe
	s_mul_hi_u32 s31, s24, s29
	s_mul_i32 s30, s24, s29
	s_mul_hi_u32 s2, s24, s28
	s_mul_i32 s33, s25, s28
	s_wait_alu 0xfffe
	s_add_nc_u64 s[30:31], s[2:3], s[30:31]
	s_mul_hi_u32 s23, s25, s28
	s_mul_hi_u32 s34, s25, s29
	s_add_co_u32 s2, s30, s33
	s_wait_alu 0xfffe
	s_add_co_ci_u32 s2, s31, s23
	s_mul_i32 s28, s25, s29
	s_add_co_ci_u32 s29, s34, 0
	s_wait_alu 0xfffe
	s_add_nc_u64 s[28:29], s[2:3], s[28:29]
	s_wait_alu 0xfffe
	v_add_co_u32 v4, s2, s24, s28
	s_delay_alu instid0(VALU_DEP_1) | instskip(SKIP_1) | instid1(VALU_DEP_1)
	s_cmp_lg_u32 s2, 0
	s_add_co_ci_u32 s25, s25, s29
	v_readfirstlane_b32 s24, v4
	s_wait_alu 0xfffe
	s_delay_alu instid0(VALU_DEP_1)
	s_mul_u64 s[26:27], s[26:27], s[24:25]
	s_wait_alu 0xfffe
	s_mul_hi_u32 s29, s24, s27
	s_mul_i32 s28, s24, s27
	s_mul_hi_u32 s2, s24, s26
	s_mul_i32 s30, s25, s26
	s_wait_alu 0xfffe
	s_add_nc_u64 s[28:29], s[2:3], s[28:29]
	s_mul_hi_u32 s23, s25, s26
	s_mul_hi_u32 s24, s25, s27
	s_wait_alu 0xfffe
	s_add_co_u32 s2, s28, s30
	s_add_co_ci_u32 s2, s29, s23
	s_mul_i32 s26, s25, s27
	s_add_co_ci_u32 s27, s24, 0
	s_wait_alu 0xfffe
	s_add_nc_u64 s[26:27], s[2:3], s[26:27]
	s_wait_alu 0xfffe
	v_add_co_u32 v4, s2, v4, s26
	s_delay_alu instid0(VALU_DEP_1) | instskip(SKIP_1) | instid1(VALU_DEP_1)
	s_cmp_lg_u32 s2, 0
	s_add_co_ci_u32 s2, s25, s27
	v_mul_hi_u32 v13, v5, v4
	s_wait_alu 0xfffe
	v_mad_co_u64_u32 v[7:8], null, v5, s2, 0
	v_mad_co_u64_u32 v[9:10], null, v6, v4, 0
	;; [unrolled: 1-line block ×3, first 2 shown]
	s_delay_alu instid0(VALU_DEP_3) | instskip(SKIP_1) | instid1(VALU_DEP_4)
	v_add_co_u32 v4, vcc_lo, v13, v7
	s_wait_alu 0xfffd
	v_add_co_ci_u32_e32 v7, vcc_lo, 0, v8, vcc_lo
	s_delay_alu instid0(VALU_DEP_2) | instskip(SKIP_1) | instid1(VALU_DEP_2)
	v_add_co_u32 v4, vcc_lo, v4, v9
	s_wait_alu 0xfffd
	v_add_co_ci_u32_e32 v4, vcc_lo, v7, v10, vcc_lo
	s_wait_alu 0xfffd
	v_add_co_ci_u32_e32 v7, vcc_lo, 0, v12, vcc_lo
	s_delay_alu instid0(VALU_DEP_2) | instskip(SKIP_1) | instid1(VALU_DEP_2)
	v_add_co_u32 v4, vcc_lo, v4, v11
	s_wait_alu 0xfffd
	v_add_co_ci_u32_e32 v9, vcc_lo, 0, v7, vcc_lo
	s_delay_alu instid0(VALU_DEP_2) | instskip(SKIP_1) | instid1(VALU_DEP_3)
	v_mul_lo_u32 v10, s21, v4
	v_mad_co_u64_u32 v[7:8], null, s20, v4, 0
	v_mul_lo_u32 v11, s20, v9
	s_delay_alu instid0(VALU_DEP_2) | instskip(NEXT) | instid1(VALU_DEP_2)
	v_sub_co_u32 v7, vcc_lo, v5, v7
	v_add3_u32 v8, v8, v11, v10
	s_delay_alu instid0(VALU_DEP_1) | instskip(SKIP_1) | instid1(VALU_DEP_1)
	v_sub_nc_u32_e32 v10, v6, v8
	s_wait_alu 0xfffd
	v_subrev_co_ci_u32_e64 v10, s2, s21, v10, vcc_lo
	v_add_co_u32 v11, s2, v4, 2
	s_wait_alu 0xf1ff
	v_add_co_ci_u32_e64 v12, s2, 0, v9, s2
	v_sub_co_u32 v13, s2, v7, s20
	v_sub_co_ci_u32_e32 v8, vcc_lo, v6, v8, vcc_lo
	s_wait_alu 0xf1ff
	v_subrev_co_ci_u32_e64 v10, s2, 0, v10, s2
	s_delay_alu instid0(VALU_DEP_3) | instskip(NEXT) | instid1(VALU_DEP_3)
	v_cmp_le_u32_e32 vcc_lo, s20, v13
	v_cmp_eq_u32_e64 s2, s21, v8
	s_wait_alu 0xfffd
	v_cndmask_b32_e64 v13, 0, -1, vcc_lo
	v_cmp_le_u32_e32 vcc_lo, s21, v10
	s_wait_alu 0xfffd
	v_cndmask_b32_e64 v14, 0, -1, vcc_lo
	v_cmp_le_u32_e32 vcc_lo, s20, v7
	;; [unrolled: 3-line block ×3, first 2 shown]
	s_wait_alu 0xfffd
	v_cndmask_b32_e64 v15, 0, -1, vcc_lo
	v_cmp_eq_u32_e32 vcc_lo, s21, v10
	s_wait_alu 0xf1ff
	s_delay_alu instid0(VALU_DEP_2)
	v_cndmask_b32_e64 v7, v15, v7, s2
	s_wait_alu 0xfffd
	v_cndmask_b32_e32 v10, v14, v13, vcc_lo
	v_add_co_u32 v13, vcc_lo, v4, 1
	s_wait_alu 0xfffd
	v_add_co_ci_u32_e32 v14, vcc_lo, 0, v9, vcc_lo
	s_delay_alu instid0(VALU_DEP_3) | instskip(SKIP_2) | instid1(VALU_DEP_3)
	v_cmp_ne_u32_e32 vcc_lo, 0, v10
	s_wait_alu 0xfffd
	v_cndmask_b32_e32 v10, v13, v11, vcc_lo
	v_cndmask_b32_e32 v8, v14, v12, vcc_lo
	v_cmp_ne_u32_e32 vcc_lo, 0, v7
	s_wait_alu 0xfffd
	s_delay_alu instid0(VALU_DEP_2)
	v_dual_cndmask_b32 v7, v4, v10 :: v_dual_cndmask_b32 v8, v9, v8
.LBB0_4:                                ;   in Loop: Header=BB0_2 Depth=1
	s_wait_alu 0xfffe
	s_and_not1_saveexec_b32 s2, s22
	s_cbranch_execz .LBB0_6
; %bb.5:                                ;   in Loop: Header=BB0_2 Depth=1
	v_cvt_f32_u32_e32 v4, s20
	s_sub_co_i32 s22, 0, s20
	s_delay_alu instid0(VALU_DEP_1) | instskip(NEXT) | instid1(TRANS32_DEP_1)
	v_rcp_iflag_f32_e32 v4, v4
	v_mul_f32_e32 v4, 0x4f7ffffe, v4
	s_delay_alu instid0(VALU_DEP_1) | instskip(SKIP_1) | instid1(VALU_DEP_1)
	v_cvt_u32_f32_e32 v4, v4
	s_wait_alu 0xfffe
	v_mul_lo_u32 v7, s22, v4
	s_delay_alu instid0(VALU_DEP_1) | instskip(NEXT) | instid1(VALU_DEP_1)
	v_mul_hi_u32 v7, v4, v7
	v_add_nc_u32_e32 v4, v4, v7
	s_delay_alu instid0(VALU_DEP_1) | instskip(NEXT) | instid1(VALU_DEP_1)
	v_mul_hi_u32 v4, v5, v4
	v_mul_lo_u32 v7, v4, s20
	v_add_nc_u32_e32 v8, 1, v4
	s_delay_alu instid0(VALU_DEP_2) | instskip(NEXT) | instid1(VALU_DEP_1)
	v_sub_nc_u32_e32 v7, v5, v7
	v_subrev_nc_u32_e32 v9, s20, v7
	v_cmp_le_u32_e32 vcc_lo, s20, v7
	s_wait_alu 0xfffd
	s_delay_alu instid0(VALU_DEP_2) | instskip(NEXT) | instid1(VALU_DEP_1)
	v_dual_cndmask_b32 v7, v7, v9 :: v_dual_cndmask_b32 v4, v4, v8
	v_cmp_le_u32_e32 vcc_lo, s20, v7
	s_delay_alu instid0(VALU_DEP_2) | instskip(SKIP_1) | instid1(VALU_DEP_1)
	v_add_nc_u32_e32 v8, 1, v4
	s_wait_alu 0xfffd
	v_dual_cndmask_b32 v7, v4, v8 :: v_dual_mov_b32 v8, v3
.LBB0_6:                                ;   in Loop: Header=BB0_2 Depth=1
	s_wait_alu 0xfffe
	s_or_b32 exec_lo, exec_lo, s2
	s_load_b64 s[22:23], s[14:15], 0x0
	s_delay_alu instid0(VALU_DEP_1)
	v_mul_lo_u32 v4, v8, s20
	v_mul_lo_u32 v11, v7, s21
	v_mad_co_u64_u32 v[9:10], null, v7, s20, 0
	s_add_nc_u64 s[16:17], s[16:17], 1
	s_add_nc_u64 s[14:15], s[14:15], 8
	s_wait_alu 0xfffe
	v_cmp_ge_u64_e64 s2, s[16:17], s[6:7]
	s_add_nc_u64 s[18:19], s[18:19], 8
	s_delay_alu instid0(VALU_DEP_2) | instskip(NEXT) | instid1(VALU_DEP_3)
	v_add3_u32 v4, v10, v11, v4
	v_sub_co_u32 v5, vcc_lo, v5, v9
	s_wait_alu 0xfffd
	s_delay_alu instid0(VALU_DEP_2) | instskip(SKIP_3) | instid1(VALU_DEP_2)
	v_sub_co_ci_u32_e32 v4, vcc_lo, v6, v4, vcc_lo
	s_and_b32 vcc_lo, exec_lo, s2
	s_wait_kmcnt 0x0
	v_mul_lo_u32 v6, s23, v5
	v_mul_lo_u32 v4, s22, v4
	v_mad_co_u64_u32 v[1:2], null, s22, v5, v[1:2]
	s_delay_alu instid0(VALU_DEP_1)
	v_add3_u32 v2, v6, v2, v4
	s_wait_alu 0xfffe
	s_cbranch_vccnz .LBB0_8
; %bb.7:                                ;   in Loop: Header=BB0_2 Depth=1
	v_dual_mov_b32 v5, v7 :: v_dual_mov_b32 v6, v8
	s_branch .LBB0_2
.LBB0_8:
	s_lshl_b64 s[2:3], s[6:7], 3
	v_mul_hi_u32 v3, 0xf0f0f10, v0
	s_wait_alu 0xfffe
	s_add_nc_u64 s[2:3], s[12:13], s[2:3]
	v_dual_mov_b32 v18, 0 :: v_dual_mov_b32 v45, 0
	s_load_b64 s[2:3], s[2:3], 0x0
	s_load_b64 s[0:1], s[0:1], 0x20
	v_mov_b32_e32 v17, 0
                                        ; implicit-def: $vgpr30
                                        ; implicit-def: $vgpr26
                                        ; implicit-def: $vgpr20
                                        ; implicit-def: $vgpr22
                                        ; implicit-def: $vgpr14
                                        ; implicit-def: $vgpr10
                                        ; implicit-def: $vgpr6
                                        ; implicit-def: $vgpr42
                                        ; implicit-def: $vgpr44
                                        ; implicit-def: $vgpr40
                                        ; implicit-def: $vgpr28
                                        ; implicit-def: $vgpr24
                                        ; implicit-def: $vgpr16
                                        ; implicit-def: $vgpr12
	s_delay_alu instid0(VALU_DEP_3) | instskip(NEXT) | instid1(VALU_DEP_1)
	v_mul_u32_u24_e32 v3, 17, v3
	v_sub_nc_u32_e32 v0, v0, v3
	s_wait_kmcnt 0x0
	v_mul_lo_u32 v4, s2, v8
	v_mul_lo_u32 v5, s3, v7
	v_mad_co_u64_u32 v[1:2], null, s2, v7, v[1:2]
	v_cmp_gt_u64_e32 vcc_lo, s[0:1], v[7:8]
                                        ; implicit-def: $vgpr8
	s_delay_alu instid0(VALU_DEP_2)
	v_add3_u32 v2, v5, v2, v4
                                        ; implicit-def: $vgpr4
	s_and_saveexec_b32 s1, vcc_lo
	s_cbranch_execz .LBB0_12
; %bb.9:
	v_dual_mov_b32 v17, 0 :: v_dual_mov_b32 v18, 0
	s_mov_b32 s2, exec_lo
                                        ; implicit-def: $vgpr7
                                        ; implicit-def: $vgpr11
                                        ; implicit-def: $vgpr15
                                        ; implicit-def: $vgpr23
                                        ; implicit-def: $vgpr27
                                        ; implicit-def: $vgpr39
                                        ; implicit-def: $vgpr43
                                        ; implicit-def: $vgpr41
                                        ; implicit-def: $vgpr5
                                        ; implicit-def: $vgpr3
                                        ; implicit-def: $vgpr9
                                        ; implicit-def: $vgpr13
                                        ; implicit-def: $vgpr21
                                        ; implicit-def: $vgpr19
                                        ; implicit-def: $vgpr25
                                        ; implicit-def: $vgpr29
	v_cmpx_gt_u32_e32 9, v0
	s_cbranch_execz .LBB0_11
; %bb.10:
	v_add_nc_u32_e32 v12, 9, v0
	v_add_nc_u32_e32 v14, 18, v0
	v_mad_co_u64_u32 v[3:4], null, s8, v0, 0
	v_add_nc_u32_e32 v18, 45, v0
	s_delay_alu instid0(VALU_DEP_4) | instskip(NEXT) | instid1(VALU_DEP_4)
	v_mad_co_u64_u32 v[5:6], null, s8, v12, 0
	v_mad_co_u64_u32 v[7:8], null, s8, v14, 0
	v_add_nc_u32_e32 v34, 0x5a, v0
	v_add_nc_u32_e32 v38, 0x75, v0
	;; [unrolled: 1-line block ×3, first 2 shown]
	v_or_b32_e32 v47, 0x90, v0
	v_mad_co_u64_u32 v[9:10], null, s9, v0, v[4:5]
	v_dual_mov_b32 v4, v6 :: v_dual_add_nc_u32 v15, 27, v0
	v_dual_mov_b32 v6, v8 :: v_dual_add_nc_u32 v17, 36, v0
	v_lshlrev_b64_e32 v[10:11], 3, v[1:2]
	s_delay_alu instid0(VALU_DEP_3) | instskip(SKIP_1) | instid1(VALU_DEP_4)
	v_mad_co_u64_u32 v[12:13], null, s9, v12, v[4:5]
	v_mov_b32_e32 v4, v9
	v_mad_co_u64_u32 v[8:9], null, s9, v14, v[6:7]
	v_mad_co_u64_u32 v[13:14], null, s8, v15, 0
	v_add_co_u32 v44, s0, s10, v10
	s_wait_alu 0xf1ff
	v_add_co_ci_u32_e64 v45, s0, s11, v11, s0
	v_mov_b32_e32 v6, v12
	v_lshlrev_b64_e32 v[7:8], 3, v[7:8]
	v_mov_b32_e32 v9, v14
	v_mad_co_u64_u32 v[27:28], null, s8, v34, 0
	v_add_nc_u32_e32 v41, 0x7e, v0
	s_delay_alu instid0(VALU_DEP_3) | instskip(SKIP_2) | instid1(VALU_DEP_2)
	v_mad_co_u64_u32 v[9:10], null, s9, v15, v[9:10]
	v_mad_co_u64_u32 v[10:11], null, s8, v17, 0
	;; [unrolled: 1-line block ×3, first 2 shown]
	v_dual_mov_b32 v14, v9 :: v_dual_mov_b32 v9, v11
	s_delay_alu instid0(VALU_DEP_2) | instskip(SKIP_1) | instid1(VALU_DEP_3)
	v_mov_b32_e32 v11, v16
	v_lshlrev_b64_e32 v[3:4], 3, v[3:4]
	v_lshlrev_b64_e32 v[12:13], 3, v[13:14]
	s_delay_alu instid0(VALU_DEP_4)
	v_mad_co_u64_u32 v[16:17], null, s9, v17, v[9:10]
	v_add_nc_u32_e32 v9, 54, v0
	v_lshlrev_b64_e32 v[5:6], 3, v[5:6]
	v_add_co_u32 v3, s0, v44, v3
	v_mad_co_u64_u32 v[17:18], null, s9, v18, v[11:12]
	s_wait_alu 0xf1ff
	v_add_co_ci_u32_e64 v4, s0, v45, v4, s0
	s_delay_alu instid0(VALU_DEP_4)
	v_add_co_u32 v5, s0, v44, v5
	s_wait_alu 0xf1ff
	v_add_co_ci_u32_e64 v6, s0, v45, v6, s0
	v_add_co_u32 v7, s0, v44, v7
	v_mad_co_u64_u32 v[21:22], null, s8, v9, 0
	s_wait_alu 0xf1ff
	v_add_co_ci_u32_e64 v8, s0, v45, v8, s0
	v_dual_mov_b32 v11, v16 :: v_dual_mov_b32 v16, v17
	v_add_co_u32 v12, s0, v44, v12
	v_add_nc_u32_e32 v14, 63, v0
	s_wait_alu 0xf1ff
	v_add_co_ci_u32_e64 v13, s0, v45, v13, s0
	s_clause 0x3
	global_load_b64 v[17:18], v[3:4], off
	global_load_b64 v[29:30], v[5:6], off
	;; [unrolled: 1-line block ×4, first 2 shown]
	v_lshlrev_b64_e32 v[6:7], 3, v[15:16]
	v_mad_co_u64_u32 v[23:24], null, s8, v14, 0
	v_mov_b32_e32 v5, v22
	v_lshlrev_b64_e32 v[3:4], 3, v[10:11]
	v_add_nc_u32_e32 v15, 0x48, v0
	s_delay_alu instid0(VALU_DEP_3) | instskip(SKIP_1) | instid1(VALU_DEP_4)
	v_mad_co_u64_u32 v[9:10], null, s9, v9, v[5:6]
	v_mov_b32_e32 v8, v24
	v_add_co_u32 v3, s0, v44, v3
	s_wait_alu 0xf1ff
	v_add_co_ci_u32_e64 v4, s0, v45, v4, s0
	v_add_co_u32 v5, s0, v44, v6
	v_mad_co_u64_u32 v[10:11], null, s9, v14, v[8:9]
	v_mad_co_u64_u32 v[11:12], null, s8, v15, 0
	v_mov_b32_e32 v22, v9
	s_wait_alu 0xf1ff
	v_add_co_ci_u32_e64 v6, s0, v45, v7, s0
	s_delay_alu instid0(VALU_DEP_4) | instskip(NEXT) | instid1(VALU_DEP_3)
	v_mov_b32_e32 v24, v10
	v_lshlrev_b64_e32 v[8:9], 3, v[21:22]
	v_dual_mov_b32 v7, v12 :: v_dual_add_nc_u32 v10, 0x51, v0
	s_delay_alu instid0(VALU_DEP_3) | instskip(NEXT) | instid1(VALU_DEP_2)
	v_lshlrev_b64_e32 v[12:13], 3, v[23:24]
	v_mad_co_u64_u32 v[14:15], null, s9, v15, v[7:8]
	s_delay_alu instid0(VALU_DEP_3) | instskip(SKIP_4) | instid1(VALU_DEP_4)
	v_mad_co_u64_u32 v[15:16], null, s8, v10, 0
	v_add_co_u32 v7, s0, v44, v8
	s_wait_alu 0xf1ff
	v_add_co_ci_u32_e64 v8, s0, v45, v9, s0
	v_add_co_u32 v23, s0, v44, v12
	v_mov_b32_e32 v9, v16
	s_wait_alu 0xf1ff
	v_add_co_ci_u32_e64 v24, s0, v45, v13, s0
	v_mov_b32_e32 v12, v14
	s_delay_alu instid0(VALU_DEP_3)
	v_mad_co_u64_u32 v[32:33], null, s9, v10, v[9:10]
	s_clause 0x3
	global_load_b64 v[21:22], v[3:4], off
	global_load_b64 v[13:14], v[5:6], off
	;; [unrolled: 1-line block ×4, first 2 shown]
	v_add_nc_u32_e32 v33, 0x63, v0
	v_lshlrev_b64_e32 v[5:6], 3, v[11:12]
	v_mov_b32_e32 v7, v28
	s_delay_alu instid0(VALU_DEP_3) | instskip(NEXT) | instid1(VALU_DEP_2)
	v_mad_co_u64_u32 v[11:12], null, s8, v33, 0
	v_mad_co_u64_u32 v[7:8], null, s9, v34, v[7:8]
	v_add_nc_u32_e32 v34, 0x6c, v0
	v_mov_b32_e32 v16, v32
	v_add_co_u32 v5, s0, v44, v5
	v_mov_b32_e32 v8, v12
	s_delay_alu instid0(VALU_DEP_4) | instskip(SKIP_4) | instid1(VALU_DEP_3)
	v_mad_co_u64_u32 v[23:24], null, s8, v34, 0
	v_mov_b32_e32 v28, v7
	v_lshlrev_b64_e32 v[15:16], 3, v[15:16]
	s_wait_alu 0xf1ff
	v_add_co_ci_u32_e64 v6, s0, v45, v6, s0
	v_lshlrev_b64_e32 v[27:28], 3, v[27:28]
	s_delay_alu instid0(VALU_DEP_3) | instskip(SKIP_2) | instid1(VALU_DEP_3)
	v_add_co_u32 v15, s0, v44, v15
	s_wait_alu 0xf1ff
	v_add_co_ci_u32_e64 v16, s0, v45, v16, s0
	v_add_co_u32 v27, s0, v44, v27
	s_wait_alu 0xf1ff
	v_add_co_ci_u32_e64 v28, s0, v45, v28, s0
	s_wait_loadcnt 0x1
	v_mad_co_u64_u32 v[7:8], null, s9, v33, v[8:9]
	v_mad_co_u64_u32 v[32:33], null, s8, v38, 0
	s_delay_alu instid0(VALU_DEP_2) | instskip(NEXT) | instid1(VALU_DEP_1)
	v_dual_mov_b32 v12, v7 :: v_dual_mov_b32 v7, v24
	v_lshlrev_b64_e32 v[11:12], 3, v[11:12]
	s_delay_alu instid0(VALU_DEP_2) | instskip(SKIP_2) | instid1(VALU_DEP_4)
	v_mad_co_u64_u32 v[7:8], null, s9, v34, v[7:8]
	v_mad_co_u64_u32 v[34:35], null, s8, v41, 0
	v_mov_b32_e32 v8, v33
	v_add_co_u32 v36, s0, v44, v11
	s_wait_alu 0xf1ff
	v_add_co_ci_u32_e64 v37, s0, v45, v12, s0
	s_delay_alu instid0(VALU_DEP_3) | instskip(SKIP_2) | instid1(VALU_DEP_2)
	v_mad_co_u64_u32 v[38:39], null, s9, v38, v[8:9]
	v_dual_mov_b32 v24, v7 :: v_dual_mov_b32 v7, v35
	v_mad_co_u64_u32 v[39:40], null, s8, v46, 0
	v_lshlrev_b64_e32 v[23:24], 3, v[23:24]
	s_delay_alu instid0(VALU_DEP_3)
	v_mad_co_u64_u32 v[41:42], null, s9, v41, v[7:8]
	v_mad_co_u64_u32 v[42:43], null, s8, v47, 0
	s_clause 0x3
	global_load_b64 v[5:6], v[5:6], off
	global_load_b64 v[7:8], v[15:16], off
	;; [unrolled: 1-line block ×4, first 2 shown]
	v_mov_b32_e32 v27, v40
	v_mov_b32_e32 v33, v38
	v_add_co_u32 v23, s0, v44, v23
	v_mov_b32_e32 v35, v41
	s_delay_alu instid0(VALU_DEP_4)
	v_mad_co_u64_u32 v[27:28], null, s9, v46, v[27:28]
	v_mov_b32_e32 v28, v43
	v_lshlrev_b64_e32 v[32:33], 3, v[32:33]
	s_wait_alu 0xf1ff
	v_add_co_ci_u32_e64 v24, s0, v45, v24, s0
	v_lshlrev_b64_e32 v[34:35], 3, v[34:35]
	v_mad_co_u64_u32 v[36:37], null, s9, v47, v[28:29]
	v_mov_b32_e32 v40, v27
	v_add_co_u32 v27, s0, v44, v32
	s_wait_alu 0xf1ff
	v_add_co_ci_u32_e64 v28, s0, v45, v33, s0
	s_delay_alu instid0(VALU_DEP_3) | instskip(SKIP_4) | instid1(VALU_DEP_3)
	v_lshlrev_b64_e32 v[32:33], 3, v[39:40]
	v_mov_b32_e32 v43, v36
	v_add_co_u32 v34, s0, v44, v34
	s_wait_alu 0xf1ff
	v_add_co_ci_u32_e64 v35, s0, v45, v35, s0
	v_lshlrev_b64_e32 v[36:37], 3, v[42:43]
	v_add_co_u32 v32, s0, v44, v32
	s_wait_alu 0xf1ff
	v_add_co_ci_u32_e64 v33, s0, v45, v33, s0
	s_delay_alu instid0(VALU_DEP_3)
	v_add_co_u32 v36, s0, v44, v36
	s_wait_alu 0xf1ff
	v_add_co_ci_u32_e64 v37, s0, v45, v37, s0
	s_clause 0x4
	global_load_b64 v[23:24], v[23:24], off
	global_load_b64 v[27:28], v[27:28], off
	;; [unrolled: 1-line block ×5, first 2 shown]
.LBB0_11:
	s_wait_alu 0xfffe
	s_or_b32 exec_lo, exec_lo, s2
	v_mov_b32_e32 v45, v0
.LBB0_12:
	s_wait_alu 0xfffe
	s_or_b32 exec_lo, exec_lo, s1
	v_mul_hi_u32 v32, 0x24924925, v31
	v_cmp_gt_u32_e64 s0, 9, v0
	s_delay_alu instid0(VALU_DEP_2) | instskip(NEXT) | instid1(VALU_DEP_1)
	v_sub_nc_u32_e32 v33, v31, v32
	v_lshrrev_b32_e32 v33, 1, v33
	s_delay_alu instid0(VALU_DEP_1) | instskip(NEXT) | instid1(VALU_DEP_1)
	v_add_nc_u32_e32 v32, v33, v32
	v_lshrrev_b32_e32 v32, 2, v32
	s_delay_alu instid0(VALU_DEP_1) | instskip(NEXT) | instid1(VALU_DEP_1)
	v_mul_lo_u32 v32, v32, 7
	v_sub_nc_u32_e32 v31, v31, v32
	s_delay_alu instid0(VALU_DEP_1) | instskip(NEXT) | instid1(VALU_DEP_1)
	v_mul_u32_u24_e32 v31, 0x99, v31
	v_lshlrev_b32_e32 v46, 2, v31
	s_and_saveexec_b32 s1, s0
	s_cbranch_execz .LBB0_14
; %bb.13:
	s_wait_loadcnt 0x0
	v_dual_sub_f32 v49, v30, v42 :: v_dual_add_f32 v36, v29, v41
	v_dual_add_f32 v33, v25, v43 :: v_dual_sub_f32 v50, v26, v44
	s_delay_alu instid0(VALU_DEP_2) | instskip(SKIP_1) | instid1(VALU_DEP_3)
	v_dual_add_f32 v31, v19, v39 :: v_dual_mul_f32 v54, 0xbe3c28d5, v49
	v_dual_sub_f32 v51, v20, v40 :: v_dual_add_f32 v32, v21, v27
	v_dual_mul_f32 v55, 0x3eb8f4ab, v50 :: v_dual_sub_f32 v48, v14, v24
	s_delay_alu instid0(VALU_DEP_3) | instskip(NEXT) | instid1(VALU_DEP_3)
	v_dual_fmamk_f32 v35, v36, 0xbf7ba420, v54 :: v_dual_sub_f32 v52, v10, v16
	v_dual_mul_f32 v56, 0xbf06c442, v51 :: v_dual_sub_f32 v53, v4, v12
	v_dual_sub_f32 v47, v22, v28 :: v_dual_add_f32 v34, v13, v23
	s_delay_alu instid0(VALU_DEP_3) | instskip(NEXT) | instid1(VALU_DEP_3)
	v_dual_add_f32 v38, v17, v35 :: v_dual_mul_f32 v59, 0xbf4c4adb, v48
	v_dual_add_f32 v35, v9, v15 :: v_dual_fmamk_f32 v58, v31, 0xbf59a7d5, v56
	v_fmamk_f32 v37, v33, 0x3f6eb680, v55
	s_delay_alu instid0(VALU_DEP_4)
	v_mul_f32_e32 v57, 0x3f2c7751, v47
	v_fma_f32 v54, 0xbf7ba420, v36, -v54
	v_fmamk_f32 v62, v34, 0xbf1a4643, v59
	v_fma_f32 v55, 0x3f6eb680, v33, -v55
	v_dual_add_f32 v38, v38, v37 :: v_dual_add_f32 v37, v3, v11
	v_fmamk_f32 v60, v32, 0x3f3d2fb0, v57
	v_dual_mul_f32 v61, 0x3f65296c, v52 :: v_dual_add_f32 v54, v17, v54
	s_delay_alu instid0(VALU_DEP_3) | instskip(SKIP_2) | instid1(VALU_DEP_4)
	v_add_f32_e32 v58, v38, v58
	v_add_f32_e32 v38, v5, v7
	v_mul_f32_e32 v66, 0x3f4c4adb, v47
	v_dual_fmamk_f32 v63, v35, 0x3ee437d1, v61 :: v_dual_add_f32 v54, v54, v55
	s_delay_alu instid0(VALU_DEP_4) | instskip(SKIP_2) | instid1(VALU_DEP_3)
	v_dual_add_f32 v58, v58, v60 :: v_dual_mul_f32 v55, 0xbf06c442, v49
	v_fma_f32 v56, 0xbf59a7d5, v31, -v56
	v_fma_f32 v57, 0x3f3d2fb0, v32, -v57
	v_dual_mul_f32 v65, 0xbf7ee86f, v51 :: v_dual_add_f32 v58, v58, v62
	v_mul_f32_e32 v70, 0x3f2c7751, v51
	s_delay_alu instid0(VALU_DEP_4)
	v_add_f32_e32 v54, v54, v56
	v_mul_f32_e32 v74, 0x3e3c28d5, v51
	v_mul_f32_e32 v71, 0xbf65296c, v47
	v_dual_add_f32 v58, v58, v63 :: v_dual_fmamk_f32 v63, v36, 0xbf59a7d5, v55
	v_fma_f32 v55, 0xbf59a7d5, v36, -v55
	v_sub_f32_e32 v56, v6, v8
	v_add_f32_e32 v54, v54, v57
	v_fma_f32 v57, 0xbf1a4643, v34, -v59
	v_dual_add_f32 v63, v17, v63 :: v_dual_mul_f32 v60, 0xbf763a35, v53
	v_add_f32_e32 v55, v17, v55
	s_delay_alu instid0(VALU_DEP_3) | instskip(SKIP_1) | instid1(VALU_DEP_4)
	v_dual_mul_f32 v59, 0x3f7ee86f, v56 :: v_dual_add_f32 v54, v54, v57
	v_fma_f32 v57, 0x3ee437d1, v35, -v61
	v_fmamk_f32 v62, v37, 0xbe8c1d8e, v60
	s_delay_alu instid0(VALU_DEP_2) | instskip(NEXT) | instid1(VALU_DEP_2)
	v_add_f32_e32 v54, v54, v57
	v_add_f32_e32 v58, v58, v62
	v_mul_f32_e32 v62, 0x3f65296c, v50
	s_delay_alu instid0(VALU_DEP_1) | instskip(NEXT) | instid1(VALU_DEP_1)
	v_fmamk_f32 v64, v33, 0x3ee437d1, v62
	v_add_f32_e32 v63, v63, v64
	v_fmamk_f32 v64, v31, 0x3dbcf732, v65
	v_fmamk_f32 v61, v38, 0x3dbcf732, v59
	v_fma_f32 v57, 0xbe8c1d8e, v37, -v60
	s_delay_alu instid0(VALU_DEP_3) | instskip(SKIP_3) | instid1(VALU_DEP_2)
	v_add_f32_e32 v60, v63, v64
	v_mul_f32_e32 v63, 0xbeb8f4ab, v48
	v_mul_f32_e32 v64, 0x3f2c7751, v53
	v_dual_add_f32 v58, v58, v61 :: v_dual_fmamk_f32 v61, v32, 0xbf1a4643, v66
	v_dual_fmamk_f32 v67, v37, 0x3f3d2fb0, v64 :: v_dual_add_f32 v54, v54, v57
	v_fma_f32 v57, 0x3dbcf732, v38, -v59
	s_delay_alu instid0(VALU_DEP_3) | instskip(SKIP_1) | instid1(VALU_DEP_2)
	v_dual_add_f32 v59, v60, v61 :: v_dual_fmamk_f32 v60, v34, 0x3f6eb680, v63
	v_mul_f32_e32 v61, 0xbe3c28d5, v52
	v_add_f32_e32 v59, v59, v60
	s_delay_alu instid0(VALU_DEP_2) | instskip(NEXT) | instid1(VALU_DEP_1)
	v_fmamk_f32 v60, v35, 0xbf7ba420, v61
	v_add_f32_e32 v59, v59, v60
	s_delay_alu instid0(VALU_DEP_1) | instskip(SKIP_1) | instid1(VALU_DEP_1)
	v_add_f32_e32 v59, v59, v67
	v_mul_f32_e32 v67, 0xbf763a35, v56
	v_fmamk_f32 v69, v38, 0xbe8c1d8e, v67
	s_delay_alu instid0(VALU_DEP_1) | instskip(SKIP_3) | instid1(VALU_DEP_2)
	v_dual_mul_f32 v68, 0xbeb8f4ab, v51 :: v_dual_add_f32 v59, v59, v69
	v_add_f32_e32 v54, v54, v57
	v_fma_f32 v57, 0x3ee437d1, v33, -v62
	v_mul_f32_e32 v62, 0xbf4c4adb, v49
	v_add_f32_e32 v55, v55, v57
	v_fma_f32 v57, 0x3dbcf732, v31, -v65
	v_mul_f32_e32 v65, 0x3f763a35, v50
	s_delay_alu instid0(VALU_DEP_2) | instskip(SKIP_1) | instid1(VALU_DEP_1)
	v_add_f32_e32 v55, v55, v57
	v_fma_f32 v57, 0xbf1a4643, v32, -v66
	v_add_f32_e32 v55, v55, v57
	v_fma_f32 v57, 0x3f6eb680, v34, -v63
	v_fmamk_f32 v60, v36, 0xbf1a4643, v62
	v_fmamk_f32 v63, v31, 0x3f6eb680, v68
	s_delay_alu instid0(VALU_DEP_2) | instskip(SKIP_3) | instid1(VALU_DEP_2)
	v_dual_add_f32 v55, v55, v57 :: v_dual_add_f32 v60, v17, v60
	v_fma_f32 v57, 0xbf7ba420, v35, -v61
	v_fmamk_f32 v66, v33, 0xbe8c1d8e, v65
	v_fma_f32 v65, 0xbe8c1d8e, v33, -v65
	v_dual_add_f32 v55, v55, v57 :: v_dual_add_f32 v60, v60, v66
	v_fma_f32 v57, 0x3f3d2fb0, v37, -v64
	v_mul_f32_e32 v66, 0xbf06c442, v47
	v_mul_f32_e32 v64, 0xbf2c7751, v52
	s_delay_alu instid0(VALU_DEP_4) | instskip(NEXT) | instid1(VALU_DEP_4)
	v_dual_add_f32 v60, v60, v63 :: v_dual_mul_f32 v63, 0x3f7ee86f, v48
	v_add_f32_e32 v55, v55, v57
	s_delay_alu instid0(VALU_DEP_4) | instskip(SKIP_1) | instid1(VALU_DEP_2)
	v_fmamk_f32 v61, v32, 0xbf59a7d5, v66
	v_fma_f32 v67, 0xbe8c1d8e, v38, -v67
	v_dual_add_f32 v60, v60, v61 :: v_dual_fmamk_f32 v61, v34, 0x3dbcf732, v63
	s_delay_alu instid0(VALU_DEP_2) | instskip(SKIP_1) | instid1(VALU_DEP_3)
	v_add_f32_e32 v55, v55, v67
	v_fma_f32 v63, 0x3dbcf732, v34, -v63
	v_dual_add_f32 v57, v60, v61 :: v_dual_fmamk_f32 v60, v35, 0x3f3d2fb0, v64
	v_mul_f32_e32 v61, 0xbe3c28d5, v53
	s_delay_alu instid0(VALU_DEP_2) | instskip(SKIP_1) | instid1(VALU_DEP_1)
	v_add_f32_e32 v57, v57, v60
	v_fma_f32 v62, 0xbf1a4643, v36, -v62
	v_add_f32_e32 v62, v17, v62
	s_delay_alu instid0(VALU_DEP_1) | instskip(SKIP_1) | instid1(VALU_DEP_1)
	v_add_f32_e32 v62, v62, v65
	v_fma_f32 v65, 0x3f6eb680, v31, -v68
	v_dual_mul_f32 v67, 0x3f06c442, v50 :: v_dual_add_f32 v62, v62, v65
	v_fma_f32 v65, 0xbf59a7d5, v32, -v66
	s_delay_alu instid0(VALU_DEP_2) | instskip(SKIP_2) | instid1(VALU_DEP_4)
	v_fmamk_f32 v68, v33, 0xbf59a7d5, v67
	v_mul_f32_e32 v69, 0xbf763a35, v49
	v_fma_f32 v67, 0xbf59a7d5, v33, -v67
	v_add_f32_e32 v62, v62, v65
	s_delay_alu instid0(VALU_DEP_1) | instskip(SKIP_2) | instid1(VALU_DEP_2)
	v_add_f32_e32 v62, v62, v63
	v_fma_f32 v63, 0x3f3d2fb0, v35, -v64
	v_fmamk_f32 v64, v32, 0x3ee437d1, v71
	v_add_f32_e32 v62, v62, v63
	v_fma_f32 v63, 0xbe8c1d8e, v36, -v69
	s_delay_alu instid0(VALU_DEP_1) | instskip(NEXT) | instid1(VALU_DEP_1)
	v_add_f32_e32 v63, v17, v63
	v_dual_fmamk_f32 v60, v37, 0xbf7ba420, v61 :: v_dual_add_f32 v63, v63, v67
	s_delay_alu instid0(VALU_DEP_1) | instskip(SKIP_1) | instid1(VALU_DEP_1)
	v_add_f32_e32 v57, v57, v60
	v_fma_f32 v67, 0x3f3d2fb0, v31, -v70
	v_dual_fmamk_f32 v60, v36, 0xbe8c1d8e, v69 :: v_dual_add_f32 v63, v63, v67
	s_delay_alu instid0(VALU_DEP_1) | instskip(SKIP_3) | instid1(VALU_DEP_3)
	v_add_f32_e32 v60, v17, v60
	v_fma_f32 v61, 0xbf7ba420, v37, -v61
	v_fma_f32 v67, 0x3ee437d1, v32, -v71
	v_mul_f32_e32 v66, 0x3f65296c, v56
	v_dual_add_f32 v60, v60, v68 :: v_dual_add_f32 v61, v62, v61
	s_delay_alu instid0(VALU_DEP_3) | instskip(NEXT) | instid1(VALU_DEP_3)
	v_add_f32_e32 v63, v63, v67
	v_fmamk_f32 v65, v38, 0x3ee437d1, v66
	v_fma_f32 v66, 0x3ee437d1, v38, -v66
	s_delay_alu instid0(VALU_DEP_1) | instskip(SKIP_1) | instid1(VALU_DEP_2)
	v_dual_add_f32 v61, v61, v66 :: v_dual_fmamk_f32 v68, v31, 0x3f3d2fb0, v70
	v_mul_f32_e32 v70, 0xbe3c28d5, v50
	v_dual_add_f32 v60, v60, v68 :: v_dual_add_f32 v57, v57, v65
	v_mul_f32_e32 v65, 0xbe3c28d5, v48
	s_delay_alu instid0(VALU_DEP_3) | instskip(SKIP_1) | instid1(VALU_DEP_4)
	v_fmamk_f32 v67, v33, 0xbf7ba420, v70
	v_mul_f32_e32 v71, 0xbf4c4adb, v56
	v_add_f32_e32 v60, v60, v64
	v_mul_f32_e32 v68, 0x3f7ee86f, v52
	v_fma_f32 v70, 0xbf7ba420, v33, -v70
	s_delay_alu instid0(VALU_DEP_4) | instskip(SKIP_4) | instid1(VALU_DEP_3)
	v_fmamk_f32 v72, v38, 0xbf1a4643, v71
	v_fma_f32 v71, 0xbf1a4643, v38, -v71
	v_fmamk_f32 v64, v34, 0xbf7ba420, v65
	v_fma_f32 v65, 0xbf7ba420, v34, -v65
	v_fmamk_f32 v62, v35, 0x3dbcf732, v68
	v_add_f32_e32 v60, v60, v64
	v_mul_f32_e32 v64, 0xbeb8f4ab, v53
	s_delay_alu instid0(VALU_DEP_4) | instskip(SKIP_2) | instid1(VALU_DEP_4)
	v_add_f32_e32 v63, v63, v65
	v_fma_f32 v65, 0x3dbcf732, v35, -v68
	v_mul_f32_e32 v68, 0x3eb8f4ab, v47
	v_dual_add_f32 v60, v60, v62 :: v_dual_fmamk_f32 v69, v37, 0x3f6eb680, v64
	v_fma_f32 v64, 0x3f6eb680, v37, -v64
	s_delay_alu instid0(VALU_DEP_4) | instskip(SKIP_1) | instid1(VALU_DEP_4)
	v_add_f32_e32 v63, v63, v65
	v_mul_f32_e32 v62, 0xbf7ee86f, v49
	v_dual_add_f32 v60, v60, v69 :: v_dual_mul_f32 v69, 0x3f763a35, v51
	s_delay_alu instid0(VALU_DEP_2) | instskip(SKIP_1) | instid1(VALU_DEP_2)
	v_dual_add_f32 v63, v63, v64 :: v_dual_fmamk_f32 v66, v36, 0x3dbcf732, v62
	v_fma_f32 v62, 0x3dbcf732, v36, -v62
	v_dual_add_f32 v63, v63, v71 :: v_dual_add_f32 v66, v17, v66
	s_delay_alu instid0(VALU_DEP_2) | instskip(NEXT) | instid1(VALU_DEP_2)
	v_dual_add_f32 v62, v17, v62 :: v_dual_mul_f32 v71, 0x3f2c7751, v56
	v_dual_add_f32 v66, v66, v67 :: v_dual_fmamk_f32 v67, v31, 0xbe8c1d8e, v69
	s_delay_alu instid0(VALU_DEP_2) | instskip(SKIP_4) | instid1(VALU_DEP_4)
	v_add_f32_e32 v62, v62, v70
	v_fma_f32 v69, 0xbe8c1d8e, v31, -v69
	v_mul_f32_e32 v70, 0xbf65296c, v49
	v_fmamk_f32 v73, v38, 0x3f3d2fb0, v71
	v_dual_add_f32 v65, v66, v67 :: v_dual_fmamk_f32 v66, v32, 0x3f6eb680, v68
	v_dual_mul_f32 v67, 0xbf65296c, v48 :: v_dual_add_f32 v62, v62, v69
	v_fma_f32 v68, 0x3f6eb680, v32, -v68
	v_mul_f32_e32 v69, 0xbf4c4adb, v50
	s_delay_alu instid0(VALU_DEP_3) | instskip(SKIP_4) | instid1(VALU_DEP_4)
	v_dual_add_f32 v64, v65, v66 :: v_dual_fmamk_f32 v65, v34, 0x3ee437d1, v67
	v_mul_f32_e32 v66, 0xbf06c442, v52
	v_add_f32_e32 v60, v60, v72
	v_mul_f32_e32 v72, 0x3f4c4adb, v53
	v_add_f32_e32 v62, v62, v68
	v_dual_add_f32 v64, v64, v65 :: v_dual_fmamk_f32 v65, v35, 0xbf59a7d5, v66
	v_fma_f32 v67, 0x3ee437d1, v34, -v67
	v_fmamk_f32 v68, v33, 0xbf1a4643, v69
	v_fma_f32 v69, 0xbf1a4643, v33, -v69
	v_fma_f32 v66, 0xbf59a7d5, v35, -v66
	v_dual_add_f32 v64, v64, v65 :: v_dual_fmamk_f32 v65, v37, 0xbf1a4643, v72
	v_dual_add_f32 v62, v62, v67 :: v_dual_fmamk_f32 v67, v31, 0xbf7ba420, v74
	s_delay_alu instid0(VALU_DEP_2) | instskip(SKIP_2) | instid1(VALU_DEP_3)
	v_add_f32_e32 v64, v64, v65
	v_fmamk_f32 v65, v36, 0x3ee437d1, v70
	v_fma_f32 v70, 0x3ee437d1, v36, -v70
	v_dual_add_f32 v64, v64, v73 :: v_dual_mul_f32 v73, 0x3f2c7751, v48
	s_delay_alu instid0(VALU_DEP_3) | instskip(NEXT) | instid1(VALU_DEP_3)
	v_add_f32_e32 v65, v17, v65
	v_add_f32_e32 v70, v17, v70
	s_delay_alu instid0(VALU_DEP_2) | instskip(NEXT) | instid1(VALU_DEP_2)
	v_dual_add_f32 v65, v65, v68 :: v_dual_mul_f32 v68, 0x3f763a35, v47
	v_add_f32_e32 v69, v70, v69
	v_fma_f32 v70, 0xbf7ba420, v31, -v74
	v_mul_f32_e32 v74, 0xbe3c28d5, v47
	s_delay_alu instid0(VALU_DEP_4) | instskip(SKIP_4) | instid1(VALU_DEP_4)
	v_add_f32_e32 v65, v65, v67
	v_fmamk_f32 v67, v32, 0xbe8c1d8e, v68
	v_fma_f32 v68, 0xbe8c1d8e, v32, -v68
	v_add_f32_e32 v69, v69, v70
	v_mul_f32_e32 v47, 0xbf7ee86f, v47
	v_add_f32_e32 v65, v65, v67
	v_dual_mul_f32 v67, 0xbeb8f4ab, v52 :: v_dual_add_f32 v62, v62, v66
	v_fmamk_f32 v66, v34, 0x3f3d2fb0, v73
	v_add_f32_e32 v68, v69, v68
	v_fma_f32 v69, 0x3f3d2fb0, v34, -v73
	v_mul_f32_e32 v73, 0xbf4c4adb, v51
	v_mul_f32_e32 v51, 0xbf65296c, v51
	v_dual_add_f32 v65, v65, v66 :: v_dual_fmamk_f32 v66, v35, 0x3f6eb680, v67
	s_delay_alu instid0(VALU_DEP_4)
	v_add_f32_e32 v68, v68, v69
	v_fma_f32 v67, 0x3f6eb680, v35, -v67
	v_mul_f32_e32 v69, 0xbf2c7751, v49
	v_mul_f32_e32 v49, 0xbeb8f4ab, v49
	v_add_f32_e32 v65, v65, v66
	v_fma_f32 v70, 0xbf1a4643, v37, -v72
	v_dual_mul_f32 v72, 0xbf7ee86f, v53 :: v_dual_add_f32 v67, v68, v67
	s_delay_alu instid0(VALU_DEP_2) | instskip(SKIP_2) | instid1(VALU_DEP_4)
	v_add_f32_e32 v62, v62, v70
	v_fma_f32 v70, 0x3f3d2fb0, v38, -v71
	v_mul_f32_e32 v71, 0xbf7ee86f, v50
	v_fmamk_f32 v66, v37, 0x3dbcf732, v72
	v_fma_f32 v68, 0x3dbcf732, v37, -v72
	v_mul_f32_e32 v50, 0xbf2c7751, v50
	v_add_f32_e32 v62, v62, v70
	v_fmamk_f32 v70, v36, 0x3f3d2fb0, v69
	v_fma_f32 v69, 0x3f3d2fb0, v36, -v69
	v_dual_add_f32 v65, v65, v66 :: v_dual_mul_f32 v66, 0xbf06c442, v56
	s_delay_alu instid0(VALU_DEP_3) | instskip(SKIP_1) | instid1(VALU_DEP_4)
	v_dual_add_f32 v67, v67, v68 :: v_dual_add_f32 v68, v17, v70
	v_fmamk_f32 v70, v33, 0x3dbcf732, v71
	v_add_f32_e32 v69, v17, v69
	v_fma_f32 v71, 0x3dbcf732, v33, -v71
	v_fmamk_f32 v72, v38, 0xbf59a7d5, v66
	v_fma_f32 v66, 0xbf59a7d5, v38, -v66
	v_add_f32_e32 v68, v68, v70
	s_delay_alu instid0(VALU_DEP_4) | instskip(SKIP_1) | instid1(VALU_DEP_4)
	v_dual_fmamk_f32 v70, v31, 0xbf1a4643, v73 :: v_dual_add_f32 v69, v69, v71
	v_fma_f32 v71, 0xbf1a4643, v31, -v73
	v_add_f32_e32 v66, v67, v66
	v_fma_f32 v73, 0xbf7ba420, v32, -v74
	s_delay_alu instid0(VALU_DEP_4) | instskip(SKIP_3) | instid1(VALU_DEP_2)
	v_add_f32_e32 v67, v68, v70
	v_fmamk_f32 v68, v32, 0xbf7ba420, v74
	v_dual_mul_f32 v70, 0x3f06c442, v48 :: v_dual_add_f32 v69, v69, v71
	v_dual_add_f32 v71, v17, v29 :: v_dual_mul_f32 v74, 0x3f763a35, v52
	v_dual_add_f32 v67, v67, v68 :: v_dual_fmamk_f32 v68, v34, 0xbf59a7d5, v70
	s_delay_alu instid0(VALU_DEP_3) | instskip(NEXT) | instid1(VALU_DEP_3)
	v_add_f32_e32 v69, v69, v73
	v_add_f32_e32 v71, v71, v25
	v_fma_f32 v70, 0xbf59a7d5, v34, -v70
	v_mul_f32_e32 v73, 0x3f65296c, v53
	v_add_f32_e32 v67, v67, v68
	v_fmamk_f32 v68, v35, 0xbe8c1d8e, v74
	v_add_f32_e32 v71, v71, v19
	v_add_f32_e32 v69, v69, v70
	v_fma_f32 v70, 0xbe8c1d8e, v35, -v74
	v_mul_f32_e32 v74, 0x3eb8f4ab, v56
	v_add_f32_e32 v67, v67, v68
	v_dual_add_f32 v68, v71, v21 :: v_dual_fmamk_f32 v71, v37, 0x3ee437d1, v73
	s_delay_alu instid0(VALU_DEP_4) | instskip(SKIP_1) | instid1(VALU_DEP_3)
	v_add_f32_e32 v69, v69, v70
	v_fma_f32 v70, 0x3ee437d1, v37, -v73
	v_dual_mul_f32 v48, 0xbf763a35, v48 :: v_dual_add_f32 v67, v67, v71
	s_delay_alu instid0(VALU_DEP_4) | instskip(NEXT) | instid1(VALU_DEP_3)
	v_dual_fmamk_f32 v71, v38, 0x3f6eb680, v74 :: v_dual_add_f32 v68, v68, v13
	v_add_f32_e32 v69, v69, v70
	v_fma_f32 v70, 0x3f6eb680, v36, -v49
	v_fmamk_f32 v36, v36, 0x3f6eb680, v49
	s_delay_alu instid0(VALU_DEP_4) | instskip(NEXT) | instid1(VALU_DEP_1)
	v_add_f32_e32 v68, v68, v9
	v_dual_add_f32 v49, v68, v3 :: v_dual_add_f32 v68, v17, v70
	v_fma_f32 v70, 0x3f3d2fb0, v33, -v50
	s_delay_alu instid0(VALU_DEP_4) | instskip(SKIP_1) | instid1(VALU_DEP_4)
	v_add_f32_e32 v17, v17, v36
	v_fmamk_f32 v33, v33, 0x3f3d2fb0, v50
	v_add_f32_e32 v36, v49, v5
	v_fma_f32 v50, 0x3ee437d1, v31, -v51
	v_fmamk_f32 v31, v31, 0x3ee437d1, v51
	v_add_f32_e32 v49, v68, v70
	s_delay_alu instid0(VALU_DEP_4) | instskip(NEXT) | instid1(VALU_DEP_2)
	v_dual_add_f32 v17, v17, v33 :: v_dual_add_f32 v36, v36, v7
	v_add_f32_e32 v33, v49, v50
	v_fma_f32 v49, 0x3dbcf732, v32, -v47
	s_delay_alu instid0(VALU_DEP_3) | instskip(SKIP_4) | instid1(VALU_DEP_4)
	v_add_f32_e32 v17, v17, v31
	v_fmamk_f32 v31, v32, 0x3dbcf732, v47
	v_mul_f32_e32 v47, 0xbf4c4adb, v52
	v_add_f32_e32 v36, v11, v36
	v_add_f32_e32 v32, v33, v49
	;; [unrolled: 1-line block ×3, first 2 shown]
	v_fmamk_f32 v31, v34, 0xbe8c1d8e, v48
	s_delay_alu instid0(VALU_DEP_4) | instskip(NEXT) | instid1(VALU_DEP_2)
	v_add_f32_e32 v33, v15, v36
	v_add_f32_e32 v17, v17, v31
	s_delay_alu instid0(VALU_DEP_2) | instskip(SKIP_1) | instid1(VALU_DEP_2)
	v_add_f32_e32 v33, v23, v33
	v_fma_f32 v73, 0x3f6eb680, v38, -v74
	v_add_f32_e32 v31, v27, v33
	v_fma_f32 v36, 0xbe8c1d8e, v34, -v48
	v_fma_f32 v34, 0xbf1a4643, v35, -v47
	v_fmamk_f32 v33, v35, 0xbf1a4643, v47
	v_mul_f32_e32 v35, 0xbe3c28d5, v56
	s_delay_alu instid0(VALU_DEP_4) | instskip(NEXT) | instid1(VALU_DEP_1)
	v_dual_add_f32 v31, v39, v31 :: v_dual_add_f32 v32, v32, v36
	v_dual_mul_f32 v36, 0xbf06c442, v53 :: v_dual_add_f32 v31, v43, v31
	s_delay_alu instid0(VALU_DEP_2) | instskip(NEXT) | instid1(VALU_DEP_2)
	v_add_f32_e32 v32, v32, v34
	v_fma_f32 v34, 0xbf59a7d5, v37, -v36
	s_delay_alu instid0(VALU_DEP_1) | instskip(SKIP_3) | instid1(VALU_DEP_3)
	v_dual_add_f32 v17, v17, v33 :: v_dual_add_f32 v32, v32, v34
	v_fma_f32 v34, 0xbf7ba420, v38, -v35
	v_fmamk_f32 v33, v37, 0xbf59a7d5, v36
	v_mul_u32_u24_e32 v36, 0x44, v0
	v_dual_add_f32 v37, v67, v71 :: v_dual_add_f32 v32, v32, v34
	s_delay_alu instid0(VALU_DEP_3) | instskip(SKIP_1) | instid1(VALU_DEP_4)
	v_add_f32_e32 v17, v17, v33
	v_fmamk_f32 v33, v38, 0xbf7ba420, v35
	v_add3_u32 v34, 0, v36, v46
	v_add_f32_e32 v36, v65, v72
	v_add_f32_e32 v31, v41, v31
	;; [unrolled: 1-line block ×4, first 2 shown]
	ds_store_2addr_b32 v34, v31, v32 offset1:1
	ds_store_2addr_b32 v34, v35, v66 offset0:2 offset1:3
	ds_store_2addr_b32 v34, v62, v63 offset0:4 offset1:5
	;; [unrolled: 1-line block ×7, first 2 shown]
	ds_store_b32 v34, v17 offset:64
.LBB0_14:
	s_wait_alu 0xfffe
	s_or_b32 exec_lo, exec_lo, s1
	v_lshlrev_b32_e32 v17, 2, v0
	global_wb scope:SCOPE_SE
	s_wait_loadcnt_dscnt 0x0
	s_barrier_signal -1
	s_barrier_wait -1
	global_inv scope:SCOPE_SE
	v_add_nc_u32_e32 v49, 0, v17
	v_add3_u32 v47, 0, v46, v17
	s_delay_alu instid0(VALU_DEP_2)
	v_add_nc_u32_e32 v48, v49, v46
	ds_load_b32 v17, v47
	ds_load_2addr_b32 v[35:36], v48 offset0:17 offset1:34
	ds_load_2addr_b32 v[31:32], v48 offset0:51 offset1:68
	;; [unrolled: 1-line block ×4, first 2 shown]
	global_wb scope:SCOPE_SE
	s_wait_dscnt 0x0
	s_barrier_signal -1
	s_barrier_wait -1
	global_inv scope:SCOPE_SE
	s_and_saveexec_b32 s1, s0
	s_cbranch_execz .LBB0_16
; %bb.15:
	v_dual_add_f32 v50, v18, v30 :: v_dual_sub_f32 v29, v29, v41
	v_add_f32_e32 v41, v26, v44
	v_dual_add_f32 v30, v30, v42 :: v_dual_sub_f32 v25, v25, v43
	s_delay_alu instid0(VALU_DEP_3) | instskip(SKIP_2) | instid1(VALU_DEP_3)
	v_dual_add_f32 v26, v50, v26 :: v_dual_mul_f32 v43, 0xbeb8f4ab, v29
	v_mul_f32_e32 v51, 0xbf65296c, v29
	v_dual_mul_f32 v50, 0xbf2c7751, v29 :: v_dual_sub_f32 v19, v19, v39
	v_dual_add_f32 v26, v26, v20 :: v_dual_mul_f32 v53, 0xbf763a35, v29
	s_delay_alu instid0(VALU_DEP_4) | instskip(SKIP_2) | instid1(VALU_DEP_4)
	v_fmamk_f32 v61, v30, 0x3f6eb680, v43
	v_fma_f32 v43, 0x3f6eb680, v30, -v43
	v_mul_f32_e32 v52, 0xbf7ee86f, v29
	v_dual_add_f32 v26, v26, v22 :: v_dual_mul_f32 v55, 0xbf06c442, v29
	v_fmamk_f32 v63, v30, 0x3ee437d1, v51
	v_mul_f32_e32 v54, 0xbf4c4adb, v29
	v_fma_f32 v51, 0x3ee437d1, v30, -v51
	s_delay_alu instid0(VALU_DEP_4) | instskip(SKIP_1) | instid1(VALU_DEP_3)
	v_dual_add_f32 v26, v26, v14 :: v_dual_mul_f32 v29, 0xbe3c28d5, v29
	v_dual_mul_f32 v56, 0xbf2c7751, v25 :: v_dual_add_f32 v43, v18, v43
	v_add_f32_e32 v51, v18, v51
	s_delay_alu instid0(VALU_DEP_3) | instskip(SKIP_2) | instid1(VALU_DEP_3)
	v_dual_add_f32 v26, v26, v10 :: v_dual_mul_f32 v57, 0xbf7ee86f, v25
	v_dual_add_f32 v20, v20, v40 :: v_dual_sub_f32 v21, v21, v27
	v_add_f32_e32 v22, v22, v28
	v_dual_add_f32 v26, v26, v4 :: v_dual_mul_f32 v59, 0xbe3c28d5, v25
	s_delay_alu instid0(VALU_DEP_4) | instskip(SKIP_1) | instid1(VALU_DEP_3)
	v_dual_fmamk_f32 v64, v30, 0x3dbcf732, v52 :: v_dual_fmamk_f32 v69, v41, 0x3dbcf732, v57
	v_fma_f32 v52, 0x3dbcf732, v30, -v52
	v_add_f32_e32 v26, v26, v6
	v_fma_f32 v57, 0x3dbcf732, v41, -v57
	s_delay_alu instid0(VALU_DEP_4) | instskip(NEXT) | instid1(VALU_DEP_4)
	v_dual_add_f32 v64, v18, v64 :: v_dual_sub_f32 v13, v13, v23
	v_add_f32_e32 v52, v18, v52
	s_delay_alu instid0(VALU_DEP_4) | instskip(SKIP_2) | instid1(VALU_DEP_3)
	v_add_f32_e32 v26, v26, v8
	v_dual_add_f32 v14, v14, v24 :: v_dual_sub_f32 v9, v9, v15
	v_dual_add_f32 v10, v10, v16 :: v_dual_sub_f32 v3, v3, v11
	v_dual_add_f32 v26, v12, v26 :: v_dual_add_f32 v61, v18, v61
	v_fmamk_f32 v62, v30, 0x3f3d2fb0, v50
	v_fma_f32 v50, 0x3f3d2fb0, v30, -v50
	v_add_f32_e32 v4, v4, v12
	s_delay_alu instid0(VALU_DEP_4) | instskip(SKIP_2) | instid1(VALU_DEP_3)
	v_dual_add_f32 v26, v16, v26 :: v_dual_fmamk_f32 v65, v30, 0xbe8c1d8e, v53
	v_fma_f32 v53, 0xbe8c1d8e, v30, -v53
	v_add_f32_e32 v62, v18, v62
	v_dual_add_f32 v63, v18, v63 :: v_dual_add_f32 v26, v24, v26
	v_fmamk_f32 v67, v30, 0xbf59a7d5, v55
	v_fma_f32 v55, 0xbf59a7d5, v30, -v55
	v_mul_f32_e32 v60, 0x3f06c442, v25
	v_add_f32_e32 v50, v18, v50
	v_add_f32_e32 v26, v28, v26
	v_dual_mul_f32 v58, 0xbf4c4adb, v25 :: v_dual_add_f32 v67, v18, v67
	v_add_f32_e32 v53, v18, v53
	s_delay_alu instid0(VALU_DEP_3) | instskip(NEXT) | instid1(VALU_DEP_3)
	v_dual_add_f32 v65, v18, v65 :: v_dual_add_f32 v26, v40, v26
	v_fmamk_f32 v70, v41, 0xbf1a4643, v58
	v_fmamk_f32 v68, v30, 0xbf7ba420, v29
	v_fma_f32 v29, 0xbf7ba420, v30, -v29
	v_fma_f32 v58, 0xbf1a4643, v41, -v58
	v_fmamk_f32 v66, v30, 0xbf1a4643, v54
	v_fma_f32 v54, 0xbf1a4643, v30, -v54
	v_fmamk_f32 v30, v41, 0x3f3d2fb0, v56
	v_fma_f32 v56, 0x3f3d2fb0, v41, -v56
	v_dual_add_f32 v26, v44, v26 :: v_dual_add_f32 v55, v18, v55
	s_delay_alu instid0(VALU_DEP_4)
	v_add_f32_e32 v54, v18, v54
	v_dual_add_f32 v68, v18, v68 :: v_dual_add_f32 v51, v51, v58
	v_add_f32_e32 v66, v18, v66
	v_dual_add_f32 v18, v18, v29 :: v_dual_add_f32 v29, v61, v30
	v_add_f32_e32 v26, v42, v26
	v_mul_f32_e32 v40, 0xbf65296c, v19
	v_add_f32_e32 v30, v43, v56
	v_fmamk_f32 v42, v41, 0xbf7ba420, v59
	v_fma_f32 v56, 0xbf7ba420, v41, -v59
	v_fma_f32 v59, 0xbf59a7d5, v41, -v60
	v_add_f32_e32 v44, v50, v57
	v_mul_f32_e32 v57, 0x3f763a35, v25
	v_mul_f32_e32 v16, 0xbf4c4adb, v9
	s_delay_alu instid0(VALU_DEP_4) | instskip(SKIP_4) | instid1(VALU_DEP_4)
	v_dual_add_f32 v6, v6, v8 :: v_dual_add_f32 v53, v53, v59
	v_mul_f32_e32 v59, 0x3f65296c, v25
	v_mul_f32_e32 v25, 0x3eb8f4ab, v25
	v_dual_add_f32 v43, v62, v69 :: v_dual_fmamk_f32 v58, v41, 0xbf59a7d5, v60
	v_mul_f32_e32 v60, 0x3f763a35, v19
	v_dual_fmamk_f32 v39, v41, 0x3ee437d1, v59 :: v_dual_add_f32 v52, v52, v56
	v_fmamk_f32 v56, v41, 0xbe8c1d8e, v57
	v_fma_f32 v57, 0xbe8c1d8e, v41, -v57
	s_delay_alu instid0(VALU_DEP_1) | instskip(SKIP_3) | instid1(VALU_DEP_3)
	v_dual_add_f32 v39, v67, v39 :: v_dual_add_f32 v54, v54, v57
	v_fma_f32 v57, 0x3ee437d1, v41, -v59
	v_fmamk_f32 v59, v41, 0x3f6eb680, v25
	v_fma_f32 v25, 0x3f6eb680, v41, -v25
	v_add_f32_e32 v41, v55, v57
	v_dual_fmamk_f32 v57, v20, 0x3ee437d1, v40 :: v_dual_add_f32 v50, v63, v70
	s_delay_alu instid0(VALU_DEP_4) | instskip(NEXT) | instid1(VALU_DEP_4)
	v_add_f32_e32 v55, v68, v59
	v_dual_mul_f32 v59, 0xbf4c4adb, v19 :: v_dual_add_f32 v18, v18, v25
	v_fma_f32 v25, 0x3ee437d1, v20, -v40
	s_delay_alu instid0(VALU_DEP_4) | instskip(NEXT) | instid1(VALU_DEP_3)
	v_dual_add_f32 v29, v29, v57 :: v_dual_mul_f32 v40, 0x3e3c28d5, v19
	v_fmamk_f32 v57, v20, 0xbf1a4643, v59
	v_fma_f32 v59, 0xbf1a4643, v20, -v59
	s_delay_alu instid0(VALU_DEP_4) | instskip(NEXT) | instid1(VALU_DEP_4)
	v_dual_add_f32 v25, v30, v25 :: v_dual_add_f32 v42, v64, v42
	v_fmamk_f32 v30, v20, 0xbf7ba420, v40
	v_fma_f32 v40, 0xbf7ba420, v20, -v40
	s_delay_alu instid0(VALU_DEP_4) | instskip(NEXT) | instid1(VALU_DEP_3)
	v_dual_add_f32 v43, v43, v57 :: v_dual_add_f32 v44, v44, v59
	v_dual_mul_f32 v57, 0x3f2c7751, v19 :: v_dual_add_f32 v30, v50, v30
	v_fmamk_f32 v50, v20, 0xbe8c1d8e, v60
	v_fma_f32 v59, 0xbe8c1d8e, v20, -v60
	v_dual_add_f32 v40, v51, v40 :: v_dual_mul_f32 v51, 0xbeb8f4ab, v19
	v_mul_f32_e32 v60, 0xbf7ee86f, v19
	s_delay_alu instid0(VALU_DEP_4) | instskip(NEXT) | instid1(VALU_DEP_4)
	v_add_f32_e32 v42, v42, v50
	v_add_f32_e32 v52, v52, v59
	v_dual_mul_f32 v19, 0xbf06c442, v19 :: v_dual_add_f32 v58, v65, v58
	v_fmamk_f32 v59, v20, 0x3f6eb680, v51
	v_fmamk_f32 v50, v20, 0x3f3d2fb0, v57
	v_fma_f32 v57, 0x3f3d2fb0, v20, -v57
	v_fma_f32 v51, 0x3f6eb680, v20, -v51
	;; [unrolled: 1-line block ×3, first 2 shown]
	s_delay_alu instid0(VALU_DEP_3) | instskip(SKIP_1) | instid1(VALU_DEP_4)
	v_add_f32_e32 v53, v53, v57
	v_fmamk_f32 v57, v20, 0x3dbcf732, v60
	v_add_f32_e32 v51, v54, v51
	v_add_f32_e32 v56, v66, v56
	v_fmamk_f32 v54, v20, 0xbf59a7d5, v19
	v_fma_f32 v19, 0xbf59a7d5, v20, -v19
	v_add_f32_e32 v39, v39, v57
	v_dual_mul_f32 v28, 0xbf7ee86f, v21 :: v_dual_add_f32 v27, v41, v27
	s_delay_alu instid0(VALU_DEP_4) | instskip(NEXT) | instid1(VALU_DEP_4)
	v_dual_add_f32 v20, v55, v54 :: v_dual_mul_f32 v41, 0xbe3c28d5, v21
	v_add_f32_e32 v18, v18, v19
	s_delay_alu instid0(VALU_DEP_3) | instskip(SKIP_3) | instid1(VALU_DEP_4)
	v_fmamk_f32 v54, v22, 0x3dbcf732, v28
	v_fma_f32 v28, 0x3dbcf732, v22, -v28
	v_mul_f32_e32 v19, 0x3f763a35, v21
	v_fmamk_f32 v55, v22, 0xbf7ba420, v41
	v_add_f32_e32 v29, v29, v54
	s_delay_alu instid0(VALU_DEP_4) | instskip(SKIP_2) | instid1(VALU_DEP_1)
	v_add_f32_e32 v25, v25, v28
	v_fma_f32 v28, 0xbf7ba420, v22, -v41
	v_fmamk_f32 v41, v22, 0xbe8c1d8e, v19
	v_dual_add_f32 v43, v43, v55 :: v_dual_add_f32 v30, v30, v41
	v_dual_mul_f32 v41, 0xbf65296c, v21 :: v_dual_add_f32 v56, v56, v59
	s_delay_alu instid0(VALU_DEP_1) | instskip(SKIP_1) | instid1(VALU_DEP_1)
	v_fmamk_f32 v55, v22, 0x3ee437d1, v41
	v_fma_f32 v41, 0x3ee437d1, v22, -v41
	v_add_f32_e32 v41, v53, v41
	v_mul_f32_e32 v53, 0x3f4c4adb, v21
	v_fma_f32 v19, 0xbe8c1d8e, v22, -v19
	v_add_f32_e32 v50, v58, v50
	s_delay_alu instid0(VALU_DEP_3) | instskip(NEXT) | instid1(VALU_DEP_3)
	v_dual_add_f32 v28, v44, v28 :: v_dual_fmamk_f32 v23, v22, 0xbf1a4643, v53
	v_dual_add_f32 v19, v40, v19 :: v_dual_mul_f32 v54, 0x3eb8f4ab, v21
	s_delay_alu instid0(VALU_DEP_3) | instskip(NEXT) | instid1(VALU_DEP_3)
	v_add_f32_e32 v50, v50, v55
	v_dual_add_f32 v23, v39, v23 :: v_dual_mul_f32 v24, 0xbf763a35, v13
	s_delay_alu instid0(VALU_DEP_3) | instskip(SKIP_3) | instid1(VALU_DEP_3)
	v_fmamk_f32 v44, v22, 0x3f6eb680, v54
	v_fma_f32 v40, 0x3f6eb680, v22, -v54
	v_mul_f32_e32 v54, 0xbf06c442, v21
	v_mul_f32_e32 v21, 0x3f2c7751, v21
	v_dual_mul_f32 v39, 0x3f06c442, v13 :: v_dual_add_f32 v40, v52, v40
	s_delay_alu instid0(VALU_DEP_3) | instskip(NEXT) | instid1(VALU_DEP_1)
	v_fma_f32 v52, 0xbf59a7d5, v22, -v54
	v_add_f32_e32 v51, v51, v52
	v_fma_f32 v52, 0xbf1a4643, v22, -v53
	v_fmamk_f32 v53, v22, 0x3f3d2fb0, v21
	v_fma_f32 v21, 0x3f3d2fb0, v22, -v21
	s_delay_alu instid0(VALU_DEP_1) | instskip(SKIP_1) | instid1(VALU_DEP_1)
	v_add_f32_e32 v18, v18, v21
	v_fma_f32 v21, 0xbe8c1d8e, v14, -v24
	v_dual_add_f32 v21, v25, v21 :: v_dual_add_f32 v42, v42, v44
	v_fmamk_f32 v44, v22, 0xbf59a7d5, v54
	v_dual_add_f32 v22, v27, v52 :: v_dual_fmamk_f32 v27, v14, 0xbe8c1d8e, v24
	v_mul_f32_e32 v52, 0xbf65296c, v13
	s_delay_alu instid0(VALU_DEP_2) | instskip(SKIP_4) | instid1(VALU_DEP_4)
	v_dual_add_f32 v44, v56, v44 :: v_dual_add_f32 v27, v29, v27
	v_fmamk_f32 v29, v14, 0xbf59a7d5, v39
	v_mul_f32_e32 v24, 0x3f2c7751, v13
	v_add_f32_e32 v20, v20, v53
	v_fma_f32 v39, 0xbf59a7d5, v14, -v39
	v_add_f32_e32 v29, v43, v29
	s_delay_alu instid0(VALU_DEP_4) | instskip(SKIP_1) | instid1(VALU_DEP_4)
	v_fmamk_f32 v25, v14, 0x3f3d2fb0, v24
	v_fma_f32 v24, 0x3f3d2fb0, v14, -v24
	v_dual_add_f32 v28, v28, v39 :: v_dual_mul_f32 v39, 0xbe3c28d5, v13
	v_fma_f32 v43, 0x3ee437d1, v14, -v52
	s_delay_alu instid0(VALU_DEP_4) | instskip(NEXT) | instid1(VALU_DEP_4)
	v_add_f32_e32 v25, v30, v25
	v_dual_fmamk_f32 v30, v14, 0x3ee437d1, v52 :: v_dual_add_f32 v19, v19, v24
	v_mul_f32_e32 v24, 0x3f7ee86f, v13
	v_mul_f32_e32 v52, 0xbeb8f4ab, v13
	s_delay_alu instid0(VALU_DEP_3) | instskip(SKIP_1) | instid1(VALU_DEP_4)
	v_dual_mul_f32 v13, 0xbf4c4adb, v13 :: v_dual_add_f32 v30, v42, v30
	v_fmamk_f32 v42, v14, 0xbf7ba420, v39
	v_dual_add_f32 v40, v40, v43 :: v_dual_fmamk_f32 v43, v14, 0x3dbcf732, v24
	v_fma_f32 v39, 0xbf7ba420, v14, -v39
	v_fma_f32 v24, 0x3dbcf732, v14, -v24
	v_fma_f32 v15, 0x3f6eb680, v14, -v52
	s_delay_alu instid0(VALU_DEP_3) | instskip(SKIP_1) | instid1(VALU_DEP_4)
	v_add_f32_e32 v39, v41, v39
	v_add_f32_e32 v41, v44, v43
	v_dual_fmamk_f32 v43, v14, 0x3f6eb680, v52 :: v_dual_add_f32 v24, v51, v24
	s_delay_alu instid0(VALU_DEP_4) | instskip(SKIP_2) | instid1(VALU_DEP_4)
	v_add_f32_e32 v15, v22, v15
	v_fmamk_f32 v22, v10, 0xbf1a4643, v16
	v_fma_f32 v16, 0xbf1a4643, v10, -v16
	v_add_f32_e32 v23, v23, v43
	v_fmamk_f32 v43, v14, 0xbf1a4643, v13
	v_fma_f32 v13, 0xbf1a4643, v14, -v13
	v_add_f32_e32 v22, v27, v22
	v_add_f32_e32 v16, v21, v16
	s_delay_alu instid0(VALU_DEP_4) | instskip(SKIP_1) | instid1(VALU_DEP_1)
	v_add_f32_e32 v14, v20, v43
	v_mul_f32_e32 v20, 0x3f763a35, v9
	v_fmamk_f32 v43, v10, 0xbe8c1d8e, v20
	s_delay_alu instid0(VALU_DEP_1) | instskip(SKIP_3) | instid1(VALU_DEP_2)
	v_add_f32_e32 v27, v29, v43
	v_add_f32_e32 v13, v18, v13
	v_mul_f32_e32 v18, 0xbeb8f4ab, v9
	v_mul_f32_e32 v29, 0xbf06c442, v9
	v_fmamk_f32 v21, v10, 0x3f6eb680, v18
	s_delay_alu instid0(VALU_DEP_1) | instskip(SKIP_3) | instid1(VALU_DEP_2)
	v_add_f32_e32 v21, v25, v21
	v_mul_f32_e32 v25, 0x3f7ee86f, v9
	v_fma_f32 v18, 0x3f6eb680, v10, -v18
	v_fma_f32 v20, 0xbe8c1d8e, v10, -v20
	v_dual_fmamk_f32 v43, v10, 0x3dbcf732, v25 :: v_dual_add_f32 v18, v19, v18
	v_fma_f32 v25, 0x3dbcf732, v10, -v25
	s_delay_alu instid0(VALU_DEP_3)
	v_add_f32_e32 v20, v28, v20
	v_fma_f32 v19, 0xbf59a7d5, v10, -v29
	v_mul_f32_e32 v12, 0xbf06c442, v3
	v_fmamk_f32 v28, v10, 0xbf59a7d5, v29
	v_mul_f32_e32 v29, 0xbf2c7751, v9
	v_dual_add_f32 v25, v39, v25 :: v_dual_add_f32 v42, v50, v42
	s_delay_alu instid0(VALU_DEP_3) | instskip(SKIP_1) | instid1(VALU_DEP_4)
	v_dual_add_f32 v19, v40, v19 :: v_dual_add_f32 v28, v30, v28
	v_mul_f32_e32 v39, 0xbe3c28d5, v9
	v_fmamk_f32 v30, v10, 0x3f3d2fb0, v29
	s_delay_alu instid0(VALU_DEP_4) | instskip(SKIP_1) | instid1(VALU_DEP_1)
	v_dual_add_f32 v40, v42, v43 :: v_dual_mul_f32 v9, 0x3f65296c, v9
	v_fma_f32 v29, 0x3f3d2fb0, v10, -v29
	v_dual_fmamk_f32 v11, v10, 0xbf7ba420, v39 :: v_dual_add_f32 v24, v24, v29
	v_fma_f32 v29, 0xbf7ba420, v10, -v39
	s_delay_alu instid0(VALU_DEP_4) | instskip(SKIP_1) | instid1(VALU_DEP_4)
	v_fmamk_f32 v39, v10, 0x3ee437d1, v9
	v_fma_f32 v9, 0x3ee437d1, v10, -v9
	v_add_f32_e32 v11, v23, v11
	s_delay_alu instid0(VALU_DEP_4) | instskip(SKIP_1) | instid1(VALU_DEP_4)
	v_dual_mul_f32 v23, 0x3f65296c, v3 :: v_dual_add_f32 v10, v15, v29
	v_mul_f32_e32 v29, 0x3f4c4adb, v3
	v_add_f32_e32 v9, v13, v9
	v_mul_f32_e32 v13, 0xbf7ee86f, v3
	v_fmamk_f32 v15, v4, 0xbf59a7d5, v12
	v_fma_f32 v12, 0xbf59a7d5, v4, -v12
	v_add_f32_e32 v14, v14, v39
	v_sub_f32_e32 v5, v5, v7
	s_delay_alu instid0(VALU_DEP_3) | instskip(SKIP_4) | instid1(VALU_DEP_4)
	v_dual_add_f32 v15, v22, v15 :: v_dual_add_f32 v12, v16, v12
	v_fmamk_f32 v16, v4, 0x3dbcf732, v13
	v_fmamk_f32 v22, v4, 0x3ee437d1, v23
	v_fma_f32 v23, 0x3ee437d1, v4, -v23
	v_fma_f32 v13, 0x3dbcf732, v4, -v13
	v_dual_add_f32 v16, v21, v16 :: v_dual_fmamk_f32 v21, v4, 0xbf1a4643, v29
	s_delay_alu instid0(VALU_DEP_3) | instskip(SKIP_1) | instid1(VALU_DEP_4)
	v_add_f32_e32 v20, v20, v23
	v_mul_f32_e32 v23, 0xbeb8f4ab, v3
	v_dual_add_f32 v13, v18, v13 :: v_dual_mul_f32 v18, 0xbe3c28d5, v3
	s_delay_alu instid0(VALU_DEP_4) | instskip(NEXT) | instid1(VALU_DEP_3)
	v_dual_add_f32 v21, v28, v21 :: v_dual_add_f32 v30, v41, v30
	v_fmamk_f32 v28, v4, 0x3f6eb680, v23
	v_fma_f32 v23, 0x3f6eb680, v4, -v23
	s_delay_alu instid0(VALU_DEP_1) | instskip(SKIP_3) | instid1(VALU_DEP_3)
	v_dual_add_f32 v23, v25, v23 :: v_dual_add_f32 v22, v27, v22
	v_fma_f32 v27, 0xbf1a4643, v4, -v29
	v_mul_f32_e32 v29, 0x3f2c7751, v3
	v_mul_f32_e32 v3, 0xbf763a35, v3
	v_add_f32_e32 v19, v19, v27
	v_fmamk_f32 v27, v4, 0xbf7ba420, v18
	v_fma_f32 v18, 0xbf7ba420, v4, -v18
	v_fma_f32 v7, 0x3f3d2fb0, v4, -v29
	s_delay_alu instid0(VALU_DEP_3) | instskip(SKIP_1) | instid1(VALU_DEP_3)
	v_add_f32_e32 v25, v30, v27
	v_fmamk_f32 v27, v4, 0x3f3d2fb0, v29
	v_dual_add_f32 v18, v24, v18 :: v_dual_add_f32 v7, v10, v7
	v_fmamk_f32 v24, v4, 0xbe8c1d8e, v3
	v_fma_f32 v3, 0xbe8c1d8e, v4, -v3
	s_delay_alu instid0(VALU_DEP_4) | instskip(SKIP_1) | instid1(VALU_DEP_3)
	v_dual_add_f32 v11, v11, v27 :: v_dual_add_f32 v28, v40, v28
	v_mul_f32_e32 v8, 0xbe3c28d5, v5
	v_dual_add_f32 v4, v14, v24 :: v_dual_add_f32 v3, v9, v3
	v_mul_f32_e32 v9, 0xbf06c442, v5
	v_mul_f32_e32 v10, 0x3eb8f4ab, v5
	s_delay_alu instid0(VALU_DEP_4) | instskip(SKIP_1) | instid1(VALU_DEP_3)
	v_fmamk_f32 v14, v6, 0xbf7ba420, v8
	v_fma_f32 v8, 0xbf7ba420, v6, -v8
	v_fmamk_f32 v24, v6, 0x3f6eb680, v10
	s_delay_alu instid0(VALU_DEP_3) | instskip(NEXT) | instid1(VALU_DEP_3)
	v_add_f32_e32 v14, v15, v14
	v_add_f32_e32 v8, v12, v8
	v_fmamk_f32 v12, v6, 0xbf59a7d5, v9
	v_fma_f32 v10, 0x3f6eb680, v6, -v10
	v_dual_add_f32 v15, v22, v24 :: v_dual_mul_f32 v22, 0x3f2c7751, v5
	v_fma_f32 v9, 0xbf59a7d5, v6, -v9
	s_delay_alu instid0(VALU_DEP_4) | instskip(SKIP_2) | instid1(VALU_DEP_4)
	v_add_f32_e32 v12, v16, v12
	v_mul_f32_e32 v16, 0xbf4c4adb, v5
	v_add_f32_e32 v10, v20, v10
	v_dual_fmamk_f32 v20, v6, 0x3f3d2fb0, v22 :: v_dual_add_f32 v9, v13, v9
	s_delay_alu instid0(VALU_DEP_3) | instskip(SKIP_1) | instid1(VALU_DEP_3)
	v_fmamk_f32 v24, v6, 0xbf1a4643, v16
	v_fma_f32 v16, 0xbf1a4643, v6, -v16
	v_add_f32_e32 v20, v21, v20
	s_delay_alu instid0(VALU_DEP_3) | instskip(NEXT) | instid1(VALU_DEP_3)
	v_add_f32_e32 v21, v28, v24
	v_dual_add_f32 v16, v23, v16 :: v_dual_mul_f32 v23, 0xbf763a35, v5
	s_delay_alu instid0(VALU_DEP_1) | instskip(SKIP_1) | instid1(VALU_DEP_2)
	v_fmamk_f32 v24, v6, 0xbe8c1d8e, v23
	v_fma_f32 v23, 0xbe8c1d8e, v6, -v23
	v_add_f32_e32 v11, v11, v24
	s_delay_alu instid0(VALU_DEP_2) | instskip(SKIP_3) | instid1(VALU_DEP_3)
	v_add_f32_e32 v7, v7, v23
	v_fma_f32 v13, 0x3f3d2fb0, v6, -v22
	v_mul_f32_e32 v22, 0x3f65296c, v5
	v_mul_f32_e32 v5, 0x3f7ee86f, v5
	v_add_f32_e32 v13, v19, v13
	s_delay_alu instid0(VALU_DEP_3) | instskip(SKIP_1) | instid1(VALU_DEP_1)
	v_fmamk_f32 v19, v6, 0x3ee437d1, v22
	v_fma_f32 v22, 0x3ee437d1, v6, -v22
	v_dual_add_f32 v19, v25, v19 :: v_dual_add_f32 v18, v18, v22
	v_dual_fmamk_f32 v25, v6, 0x3dbcf732, v5 :: v_dual_lshlrev_b32 v22, 6, v0
	v_fma_f32 v5, 0x3dbcf732, v6, -v5
	s_delay_alu instid0(VALU_DEP_2) | instskip(NEXT) | instid1(VALU_DEP_3)
	v_add3_u32 v6, v49, v22, v46
	v_add_f32_e32 v4, v4, v25
	s_delay_alu instid0(VALU_DEP_3)
	v_add_f32_e32 v3, v3, v5
	ds_store_2addr_b32 v6, v26, v14 offset1:1
	ds_store_2addr_b32 v6, v15, v12 offset0:2 offset1:3
	ds_store_2addr_b32 v6, v20, v21 offset0:4 offset1:5
	;; [unrolled: 1-line block ×7, first 2 shown]
	ds_store_b32 v6, v8 offset:64
.LBB0_16:
	s_wait_alu 0xfffe
	s_or_b32 exec_lo, exec_lo, s1
	global_wb scope:SCOPE_SE
	s_wait_dscnt 0x0
	s_barrier_signal -1
	s_barrier_wait -1
	global_inv scope:SCOPE_SE
	s_and_saveexec_b32 s0, vcc_lo
	s_cbranch_execz .LBB0_18
; %bb.17:
	v_dual_mov_b32 v4, 0 :: v_dual_lshlrev_b32 v3, 3, v0
	v_mad_co_u64_u32 v[28:29], null, s8, v45, 0
	v_add_nc_u32_e32 v57, 34, v45
	v_lshlrev_b64_e32 v[0:1], 3, v[1:2]
	s_delay_alu instid0(VALU_DEP_4)
	v_lshlrev_b64_e32 v[3:4], 3, v[3:4]
	v_add_nc_u32_e32 v56, 17, v45
	v_add_nc_u32_e32 v58, 51, v45
	v_add_nc_u32_e32 v64, 0x88, v45
	v_mov_b32_e32 v2, v29
	v_mad_co_u64_u32 v[41:42], null, s8, v57, 0
	v_add_co_u32 v15, vcc_lo, s4, v3
	s_wait_alu 0xfffd
	v_add_co_ci_u32_e32 v16, vcc_lo, s5, v4, vcc_lo
	v_add_nc_u32_e32 v59, 0x44, v45
	s_clause 0x3
	global_load_b128 v[3:6], v[15:16], off
	global_load_b128 v[7:10], v[15:16], off offset:48
	global_load_b128 v[11:14], v[15:16], off offset:16
	;; [unrolled: 1-line block ×3, first 2 shown]
	v_add_co_u32 v65, vcc_lo, s10, v0
	v_mad_co_u64_u32 v[39:40], null, s8, v56, 0
	ds_load_2addr_b32 v[15:16], v48 offset0:17 offset1:34
	ds_load_2addr_b32 v[22:23], v48 offset0:119 offset1:136
	;; [unrolled: 1-line block ×4, first 2 shown]
	ds_load_b32 v63, v47
	v_mad_co_u64_u32 v[43:44], null, s8, v58, 0
	s_wait_alu 0xfffd
	v_add_co_ci_u32_e32 v66, vcc_lo, s11, v1, vcc_lo
	v_mad_co_u64_u32 v[54:55], null, s8, v64, 0
	s_delay_alu instid0(VALU_DEP_3)
	v_dual_mov_b32 v29, v44 :: v_dual_add_nc_u32 v60, 0x55, v45
	s_wait_loadcnt 0x3
	v_mad_co_u64_u32 v[0:1], null, s9, v45, v[2:3]
	v_mov_b32_e32 v2, v42
	v_mad_co_u64_u32 v[46:47], null, s8, v59, 0
	v_add_nc_u32_e32 v61, 0x66, v45
	v_dual_mov_b32 v1, v40 :: v_dual_add_nc_u32 v62, 0x77, v45
	v_mov_b32_e32 v45, v55
	v_mad_co_u64_u32 v[48:49], null, s8, v60, 0
	v_mov_b32_e32 v30, v47
	v_mad_co_u64_u32 v[50:51], null, s8, v61, 0
	v_mad_co_u64_u32 v[55:56], null, s9, v56, v[1:2]
	;; [unrolled: 1-line block ×3, first 2 shown]
	s_delay_alu instid0(VALU_DEP_4)
	v_mad_co_u64_u32 v[56:57], null, s9, v58, v[29:30]
	v_mov_b32_e32 v29, v0
	v_mad_co_u64_u32 v[52:53], null, s8, v62, 0
	v_mov_b32_e32 v40, v49
	v_mov_b32_e32 v42, v51
	v_mad_co_u64_u32 v[57:58], null, s9, v59, v[30:31]
	s_wait_dscnt 0x4
	v_mul_f32_e32 v2, v15, v4
	v_mad_co_u64_u32 v[58:59], null, s9, v60, v[40:41]
	v_mov_b32_e32 v44, v53
	v_mad_co_u64_u32 v[59:60], null, s9, v61, v[42:43]
	v_dual_mov_b32 v47, v57 :: v_dual_mov_b32 v42, v1
	s_delay_alu instid0(VALU_DEP_3)
	v_mad_co_u64_u32 v[60:61], null, s9, v62, v[44:45]
	v_mad_co_u64_u32 v[61:62], null, s9, v64, v[45:46]
	v_mov_b32_e32 v40, v55
	s_wait_loadcnt_dscnt 0x102
	v_dual_mov_b32 v44, v56 :: v_dual_mul_f32 v57, v25, v14
	v_mov_b32_e32 v49, v58
	v_mov_b32_e32 v51, v59
	;; [unrolled: 1-line block ×4, first 2 shown]
	v_lshlrev_b64_e32 v[0:1], 3, v[39:40]
	v_lshlrev_b64_e32 v[39:40], 3, v[41:42]
	v_lshlrev_b64_e32 v[41:42], 3, v[43:44]
	v_lshlrev_b64_e32 v[43:44], 3, v[46:47]
	v_lshlrev_b64_e32 v[45:46], 3, v[48:49]
	v_lshlrev_b64_e32 v[47:48], 3, v[50:51]
	v_lshlrev_b64_e32 v[49:50], 3, v[52:53]
	v_mul_f32_e32 v53, v24, v12
	v_lshlrev_b64_e32 v[51:52], 3, v[54:55]
	v_mul_f32_e32 v30, v23, v10
	v_dual_mul_f32 v12, v31, v12 :: v_dual_mul_f32 v55, v16, v6
	s_delay_alu instid0(VALU_DEP_4)
	v_fma_f32 v31, v31, v11, -v53
	s_wait_loadcnt_dscnt 0x1
	v_mul_f32_e32 v58, v26, v19
	v_dual_mul_f32 v19, v33, v19 :: v_dual_mul_f32 v54, v27, v21
	v_dual_mul_f32 v6, v36, v6 :: v_dual_mul_f32 v21, v34, v21
	v_mul_f32_e32 v56, v22, v8
	v_fma_f32 v2, v35, v3, -v2
	v_fma_f32 v30, v38, v9, -v30
	v_dual_mul_f32 v8, v37, v8 :: v_dual_fmac_f32 v19, v18, v26
	v_fma_f32 v34, v34, v20, -v54
	v_mul_f32_e32 v4, v35, v4
	v_fma_f32 v35, v36, v5, -v55
	v_dual_fmac_f32 v6, v5, v16 :: v_dual_fmac_f32 v21, v20, v27
	v_fma_f32 v36, v37, v7, -v56
	v_mul_f32_e32 v14, v32, v14
	v_fma_f32 v32, v32, v13, -v57
	v_sub_f32_e32 v5, v2, v30
	v_fmac_f32_e32 v8, v7, v22
	v_sub_f32_e32 v7, v31, v34
	v_fma_f32 v33, v33, v18, -v58
	v_fmac_f32_e32 v12, v11, v24
	v_fmac_f32_e32 v4, v3, v15
	v_lshlrev_b64_e32 v[28:29], 3, v[28:29]
	s_delay_alu instid0(VALU_DEP_4) | instskip(NEXT) | instid1(VALU_DEP_4)
	v_dual_sub_f32 v11, v32, v33 :: v_dual_mul_f32 v10, v38, v10
	v_add_f32_e32 v16, v12, v21
	s_delay_alu instid0(VALU_DEP_3) | instskip(NEXT) | instid1(VALU_DEP_3)
	v_add_co_u32 v28, vcc_lo, v65, v28
	v_dual_fmac_f32 v10, v9, v23 :: v_dual_sub_f32 v9, v35, v36
	s_delay_alu instid0(VALU_DEP_4) | instskip(SKIP_2) | instid1(VALU_DEP_3)
	v_mul_f32_e32 v23, 0x3f7c1c5c, v11
	s_wait_alu 0xfffd
	v_add_co_ci_u32_e32 v29, vcc_lo, v66, v29, vcc_lo
	v_dual_add_f32 v18, v4, v10 :: v_dual_mul_f32 v53, 0x3f7c1c5c, v9
	v_sub_f32_e32 v4, v4, v10
	v_dual_sub_f32 v10, v12, v21 :: v_dual_add_f32 v21, v31, v34
	v_dual_fmac_f32 v14, v13, v25 :: v_dual_add_f32 v13, v6, v8
	s_delay_alu instid0(VALU_DEP_4) | instskip(SKIP_1) | instid1(VALU_DEP_3)
	v_dual_add_f32 v22, v2, v30 :: v_dual_fmac_f32 v53, 0x3f248dbb, v5
	v_fma_f32 v23, 0xbf248dbb, v9, -v23
	v_add_f32_e32 v15, v14, v19
	s_delay_alu instid0(VALU_DEP_4)
	v_dual_add_f32 v27, v18, v13 :: v_dual_add_f32 v20, v35, v36
	v_dual_mul_f32 v35, 0xbf248dbb, v11 :: v_dual_sub_f32 v6, v6, v8
	s_wait_dscnt 0x0
	v_add_f32_e32 v3, v16, v63
	v_sub_f32_e32 v8, v14, v19
	v_add_f32_e32 v55, v16, v27
	v_dual_fmac_f32 v35, 0x3f7c1c5c, v5 :: v_dual_add_f32 v30, v22, v20
	v_fmac_f32_e32 v23, 0x3f5db3d7, v7
	s_delay_alu instid0(VALU_DEP_4) | instskip(SKIP_1) | instid1(VALU_DEP_4)
	v_mul_f32_e32 v25, 0x3f7c1c5c, v8
	v_add_f32_e32 v31, v5, v11
	v_dual_fmac_f32 v35, 0xbf5db3d7, v7 :: v_dual_add_f32 v56, v21, v30
	v_mul_f32_e32 v37, 0xbf248dbb, v8
	s_delay_alu instid0(VALU_DEP_4) | instskip(NEXT) | instid1(VALU_DEP_4)
	v_fma_f32 v25, 0xbf248dbb, v6, -v25
	v_sub_f32_e32 v31, v31, v9
	v_dual_add_f32 v12, v32, v33 :: v_dual_add_f32 v27, v27, v15
	s_delay_alu instid0(VALU_DEP_4) | instskip(NEXT) | instid1(VALU_DEP_4)
	v_fmac_f32_e32 v37, 0x3f7c1c5c, v4
	v_dual_add_f32 v34, v4, v8 :: v_dual_fmac_f32 v25, 0x3f5db3d7, v10
	v_dual_add_f32 v32, v56, v32 :: v_dual_fmac_f32 v35, 0x3eaf1d44, v9
	v_fmamk_f32 v24, v13, 0x3f441b7d, v63
	v_add_f32_e32 v2, v17, v21
	v_dual_mul_f32 v54, 0x3f7c1c5c, v6 :: v_dual_fmac_f32 v3, -0.5, v27
	v_dual_sub_f32 v34, v34, v6 :: v_dual_fmac_f32 v53, 0x3f5db3d7, v7
	v_add_f32_e32 v30, v30, v12
	v_dual_add_f32 v14, v55, v14 :: v_dual_fmac_f32 v23, 0x3eaf1d44, v5
	v_dual_add_f32 v7, v32, v33 :: v_dual_fmac_f32 v24, 0x3e31d0d4, v15
	v_fmac_f32_e32 v54, 0x3f248dbb, v4
	v_mul_f32_e32 v55, 0x3f5db3d7, v31
	v_mul_f32_e32 v27, 0x3f5db3d7, v34
	v_dual_fmac_f32 v2, -0.5, v30 :: v_dual_fmac_f32 v25, 0x3eaf1d44, v4
	v_dual_fmac_f32 v24, -0.5, v16 :: v_dual_fmac_f32 v37, 0xbf5db3d7, v10
	v_add_f32_e32 v4, v14, v19
	v_fmamk_f32 v26, v20, 0x3f441b7d, v17
	v_add_co_u32 v0, vcc_lo, v65, v0
	s_delay_alu instid0(VALU_DEP_4)
	v_fmac_f32_e32 v24, 0xbf708fb2, v18
	v_fmamk_f32 v36, v15, 0x3f441b7d, v63
	v_add_f32_e32 v5, v63, v4
	v_dual_fmac_f32 v63, 0x3f441b7d, v18 :: v_dual_add_f32 v4, v17, v7
	s_wait_alu 0xfffd
	v_add_co_ci_u32_e32 v1, vcc_lo, v66, v1, vcc_lo
	v_fmac_f32_e32 v37, 0x3eaf1d44, v6
	s_delay_alu instid0(VALU_DEP_3)
	v_fmac_f32_e32 v63, 0x3e31d0d4, v13
	v_fmac_f32_e32 v54, 0x3f5db3d7, v10
	v_add_co_u32 v39, vcc_lo, v65, v39
	s_wait_alu 0xfffd
	v_add_co_ci_u32_e32 v40, vcc_lo, v66, v40, vcc_lo
	v_fmac_f32_e32 v63, -0.5, v16
	v_dual_fmac_f32 v53, 0x3eaf1d44, v11 :: v_dual_fmac_f32 v54, 0x3eaf1d44, v8
	v_add_co_u32 v41, vcc_lo, v65, v41
	s_delay_alu instid0(VALU_DEP_3) | instskip(SKIP_3) | instid1(VALU_DEP_4)
	v_fmac_f32_e32 v63, 0xbf708fb2, v15
	v_fmamk_f32 v38, v12, 0x3f441b7d, v17
	v_fmac_f32_e32 v17, 0x3f441b7d, v22
	v_dual_sub_f32 v7, v24, v23 :: v_dual_fmac_f32 v36, 0x3e31d0d4, v18
	v_sub_f32_e32 v15, v63, v53
	s_wait_alu 0xfffd
	v_add_co_ci_u32_e32 v42, vcc_lo, v66, v42, vcc_lo
	v_fmac_f32_e32 v17, 0x3e31d0d4, v20
	v_fmac_f32_e32 v36, -0.5, v16
	v_fmac_f32_e32 v26, 0x3e31d0d4, v12
	v_add_co_u32 v43, vcc_lo, v65, v43
	s_delay_alu instid0(VALU_DEP_4) | instskip(NEXT) | instid1(VALU_DEP_4)
	v_fmac_f32_e32 v17, -0.5, v21
	v_fmac_f32_e32 v36, 0xbf708fb2, v13
	v_fmac_f32_e32 v38, 0x3e31d0d4, v22
	v_dual_fmac_f32 v26, -0.5, v21 :: v_dual_fmac_f32 v3, 0xbf5db3d7, v31
	s_wait_alu 0xfffd
	v_add_co_ci_u32_e32 v44, vcc_lo, v66, v44, vcc_lo
	s_delay_alu instid0(VALU_DEP_3) | instskip(NEXT) | instid1(VALU_DEP_3)
	v_dual_sub_f32 v11, v36, v35 :: v_dual_fmac_f32 v38, -0.5, v21
	v_dual_fmac_f32 v17, 0xbf708fb2, v12 :: v_dual_fmac_f32 v26, 0xbf708fb2, v22
	v_add_co_u32 v45, vcc_lo, v65, v45
	s_delay_alu instid0(VALU_DEP_3)
	v_fmac_f32_e32 v38, 0xbf708fb2, v20
	s_wait_alu 0xfffd
	v_add_co_ci_u32_e32 v46, vcc_lo, v66, v46, vcc_lo
	v_add_co_u32 v47, vcc_lo, v65, v47
	v_add_f32_e32 v6, v25, v26
	v_fmac_f32_e32 v2, 0x3f5db3d7, v34
	v_add_f32_e32 v14, v54, v17
	s_wait_alu 0xfffd
	v_add_co_ci_u32_e32 v48, vcc_lo, v66, v48, vcc_lo
	v_add_f32_e32 v10, v37, v38
	v_add_co_u32 v49, vcc_lo, v65, v49
	s_wait_alu 0xfffd
	v_add_co_ci_u32_e32 v50, vcc_lo, v66, v50, vcc_lo
	v_fma_f32 v13, 2.0, v23, v7
	v_fma_f32 v12, -2.0, v25, v6
	v_fma_f32 v9, 2.0, v55, v3
	v_fma_f32 v8, -2.0, v27, v2
	s_clause 0x3
	global_store_b64 v[28:29], v[4:5], off
	global_store_b64 v[0:1], v[14:15], off
	;; [unrolled: 1-line block ×4, first 2 shown]
	v_add_co_u32 v0, vcc_lo, v65, v51
	v_fma_f32 v17, 2.0, v35, v11
	v_fma_f32 v16, -2.0, v37, v10
	v_fma_f32 v5, 2.0, v53, v15
	v_fma_f32 v4, -2.0, v54, v14
	s_wait_alu 0xfffd
	v_add_co_ci_u32_e32 v1, vcc_lo, v66, v52, vcc_lo
	s_clause 0x4
	global_store_b64 v[43:44], v[6:7], off
	global_store_b64 v[45:46], v[12:13], off
	;; [unrolled: 1-line block ×5, first 2 shown]
.LBB0_18:
	s_nop 0
	s_sendmsg sendmsg(MSG_DEALLOC_VGPRS)
	s_endpgm
	.section	.rodata,"a",@progbits
	.p2align	6, 0x0
	.amdhsa_kernel fft_rtc_fwd_len153_factors_17_9_wgs_119_tpt_17_halfLds_sp_ip_CI_sbrr_dirReg
		.amdhsa_group_segment_fixed_size 0
		.amdhsa_private_segment_fixed_size 0
		.amdhsa_kernarg_size 88
		.amdhsa_user_sgpr_count 2
		.amdhsa_user_sgpr_dispatch_ptr 0
		.amdhsa_user_sgpr_queue_ptr 0
		.amdhsa_user_sgpr_kernarg_segment_ptr 1
		.amdhsa_user_sgpr_dispatch_id 0
		.amdhsa_user_sgpr_private_segment_size 0
		.amdhsa_wavefront_size32 1
		.amdhsa_uses_dynamic_stack 0
		.amdhsa_enable_private_segment 0
		.amdhsa_system_sgpr_workgroup_id_x 1
		.amdhsa_system_sgpr_workgroup_id_y 0
		.amdhsa_system_sgpr_workgroup_id_z 0
		.amdhsa_system_sgpr_workgroup_info 0
		.amdhsa_system_vgpr_workitem_id 0
		.amdhsa_next_free_vgpr 75
		.amdhsa_next_free_sgpr 35
		.amdhsa_reserve_vcc 1
		.amdhsa_float_round_mode_32 0
		.amdhsa_float_round_mode_16_64 0
		.amdhsa_float_denorm_mode_32 3
		.amdhsa_float_denorm_mode_16_64 3
		.amdhsa_fp16_overflow 0
		.amdhsa_workgroup_processor_mode 1
		.amdhsa_memory_ordered 1
		.amdhsa_forward_progress 0
		.amdhsa_round_robin_scheduling 0
		.amdhsa_exception_fp_ieee_invalid_op 0
		.amdhsa_exception_fp_denorm_src 0
		.amdhsa_exception_fp_ieee_div_zero 0
		.amdhsa_exception_fp_ieee_overflow 0
		.amdhsa_exception_fp_ieee_underflow 0
		.amdhsa_exception_fp_ieee_inexact 0
		.amdhsa_exception_int_div_zero 0
	.end_amdhsa_kernel
	.text
.Lfunc_end0:
	.size	fft_rtc_fwd_len153_factors_17_9_wgs_119_tpt_17_halfLds_sp_ip_CI_sbrr_dirReg, .Lfunc_end0-fft_rtc_fwd_len153_factors_17_9_wgs_119_tpt_17_halfLds_sp_ip_CI_sbrr_dirReg
                                        ; -- End function
	.section	.AMDGPU.csdata,"",@progbits
; Kernel info:
; codeLenInByte = 9964
; NumSgprs: 37
; NumVgprs: 75
; ScratchSize: 0
; MemoryBound: 0
; FloatMode: 240
; IeeeMode: 1
; LDSByteSize: 0 bytes/workgroup (compile time only)
; SGPRBlocks: 4
; VGPRBlocks: 9
; NumSGPRsForWavesPerEU: 37
; NumVGPRsForWavesPerEU: 75
; Occupancy: 16
; WaveLimiterHint : 1
; COMPUTE_PGM_RSRC2:SCRATCH_EN: 0
; COMPUTE_PGM_RSRC2:USER_SGPR: 2
; COMPUTE_PGM_RSRC2:TRAP_HANDLER: 0
; COMPUTE_PGM_RSRC2:TGID_X_EN: 1
; COMPUTE_PGM_RSRC2:TGID_Y_EN: 0
; COMPUTE_PGM_RSRC2:TGID_Z_EN: 0
; COMPUTE_PGM_RSRC2:TIDIG_COMP_CNT: 0
	.text
	.p2alignl 7, 3214868480
	.fill 96, 4, 3214868480
	.type	__hip_cuid_821d52d8ed5da69a,@object ; @__hip_cuid_821d52d8ed5da69a
	.section	.bss,"aw",@nobits
	.globl	__hip_cuid_821d52d8ed5da69a
__hip_cuid_821d52d8ed5da69a:
	.byte	0                               ; 0x0
	.size	__hip_cuid_821d52d8ed5da69a, 1

	.ident	"AMD clang version 19.0.0git (https://github.com/RadeonOpenCompute/llvm-project roc-6.4.0 25133 c7fe45cf4b819c5991fe208aaa96edf142730f1d)"
	.section	".note.GNU-stack","",@progbits
	.addrsig
	.addrsig_sym __hip_cuid_821d52d8ed5da69a
	.amdgpu_metadata
---
amdhsa.kernels:
  - .args:
      - .actual_access:  read_only
        .address_space:  global
        .offset:         0
        .size:           8
        .value_kind:     global_buffer
      - .offset:         8
        .size:           8
        .value_kind:     by_value
      - .actual_access:  read_only
        .address_space:  global
        .offset:         16
        .size:           8
        .value_kind:     global_buffer
      - .actual_access:  read_only
        .address_space:  global
        .offset:         24
        .size:           8
        .value_kind:     global_buffer
      - .offset:         32
        .size:           8
        .value_kind:     by_value
      - .actual_access:  read_only
        .address_space:  global
        .offset:         40
        .size:           8
        .value_kind:     global_buffer
      - .actual_access:  read_only
        .address_space:  global
        .offset:         48
        .size:           8
        .value_kind:     global_buffer
      - .offset:         56
        .size:           4
        .value_kind:     by_value
      - .actual_access:  read_only
        .address_space:  global
        .offset:         64
        .size:           8
        .value_kind:     global_buffer
      - .actual_access:  read_only
        .address_space:  global
        .offset:         72
        .size:           8
        .value_kind:     global_buffer
      - .address_space:  global
        .offset:         80
        .size:           8
        .value_kind:     global_buffer
    .group_segment_fixed_size: 0
    .kernarg_segment_align: 8
    .kernarg_segment_size: 88
    .language:       OpenCL C
    .language_version:
      - 2
      - 0
    .max_flat_workgroup_size: 119
    .name:           fft_rtc_fwd_len153_factors_17_9_wgs_119_tpt_17_halfLds_sp_ip_CI_sbrr_dirReg
    .private_segment_fixed_size: 0
    .sgpr_count:     37
    .sgpr_spill_count: 0
    .symbol:         fft_rtc_fwd_len153_factors_17_9_wgs_119_tpt_17_halfLds_sp_ip_CI_sbrr_dirReg.kd
    .uniform_work_group_size: 1
    .uses_dynamic_stack: false
    .vgpr_count:     75
    .vgpr_spill_count: 0
    .wavefront_size: 32
    .workgroup_processor_mode: 1
amdhsa.target:   amdgcn-amd-amdhsa--gfx1201
amdhsa.version:
  - 1
  - 2
...

	.end_amdgpu_metadata
